;; amdgpu-corpus repo=ROCm/rocFFT kind=compiled arch=gfx906 opt=O3
	.text
	.amdgcn_target "amdgcn-amd-amdhsa--gfx906"
	.amdhsa_code_object_version 6
	.protected	fft_rtc_fwd_len3840_factors_10_6_2_2_2_2_2_2_wgs_128_tpt_128_halfLds_half_op_CI_CI_unitstride_sbrr_R2C_dirReg ; -- Begin function fft_rtc_fwd_len3840_factors_10_6_2_2_2_2_2_2_wgs_128_tpt_128_halfLds_half_op_CI_CI_unitstride_sbrr_R2C_dirReg
	.globl	fft_rtc_fwd_len3840_factors_10_6_2_2_2_2_2_2_wgs_128_tpt_128_halfLds_half_op_CI_CI_unitstride_sbrr_R2C_dirReg
	.p2align	8
	.type	fft_rtc_fwd_len3840_factors_10_6_2_2_2_2_2_2_wgs_128_tpt_128_halfLds_half_op_CI_CI_unitstride_sbrr_R2C_dirReg,@function
fft_rtc_fwd_len3840_factors_10_6_2_2_2_2_2_2_wgs_128_tpt_128_halfLds_half_op_CI_CI_unitstride_sbrr_R2C_dirReg: ; @fft_rtc_fwd_len3840_factors_10_6_2_2_2_2_2_2_wgs_128_tpt_128_halfLds_half_op_CI_CI_unitstride_sbrr_R2C_dirReg
; %bb.0:
	s_load_dwordx4 s[12:15], s[4:5], 0x0
	s_load_dwordx4 s[8:11], s[4:5], 0x58
	;; [unrolled: 1-line block ×3, first 2 shown]
	v_mov_b32_e32 v4, 0
	v_mov_b32_e32 v2, 0
	s_waitcnt lgkmcnt(0)
	v_cmp_lt_u64_e64 s[0:1], s[14:15], 2
	v_mov_b32_e32 v6, s6
	v_mov_b32_e32 v7, v4
	s_and_b64 vcc, exec, s[0:1]
	v_mov_b32_e32 v3, 0
	s_cbranch_vccnz .LBB0_8
; %bb.1:
	s_load_dwordx2 s[0:1], s[4:5], 0x10
	s_add_u32 s2, s18, 8
	s_addc_u32 s3, s19, 0
	s_add_u32 s6, s16, 8
	v_mov_b32_e32 v2, 0
	s_addc_u32 s7, s17, 0
	v_mov_b32_e32 v3, 0
	s_waitcnt lgkmcnt(0)
	s_add_u32 s20, s0, 8
	v_mov_b32_e32 v19, v3
	s_addc_u32 s21, s1, 0
	s_mov_b64 s[22:23], 1
	v_mov_b32_e32 v18, v2
.LBB0_2:                                ; =>This Inner Loop Header: Depth=1
	s_load_dwordx2 s[24:25], s[20:21], 0x0
                                        ; implicit-def: $vgpr20_vgpr21
	s_waitcnt lgkmcnt(0)
	v_or_b32_e32 v5, s25, v7
	v_cmp_ne_u64_e32 vcc, 0, v[4:5]
	s_and_saveexec_b64 s[0:1], vcc
	s_xor_b64 s[26:27], exec, s[0:1]
	s_cbranch_execz .LBB0_4
; %bb.3:                                ;   in Loop: Header=BB0_2 Depth=1
	v_cvt_f32_u32_e32 v1, s24
	v_cvt_f32_u32_e32 v5, s25
	s_sub_u32 s0, 0, s24
	s_subb_u32 s1, 0, s25
	v_mac_f32_e32 v1, 0x4f800000, v5
	v_rcp_f32_e32 v1, v1
	v_mul_f32_e32 v1, 0x5f7ffffc, v1
	v_mul_f32_e32 v5, 0x2f800000, v1
	v_trunc_f32_e32 v5, v5
	v_mac_f32_e32 v1, 0xcf800000, v5
	v_cvt_u32_f32_e32 v5, v5
	v_cvt_u32_f32_e32 v1, v1
	v_mul_lo_u32 v8, s0, v5
	v_mul_hi_u32 v9, s0, v1
	v_mul_lo_u32 v11, s1, v1
	v_mul_lo_u32 v10, s0, v1
	v_add_u32_e32 v8, v9, v8
	v_add_u32_e32 v8, v8, v11
	v_mul_hi_u32 v9, v1, v10
	v_mul_lo_u32 v11, v1, v8
	v_mul_hi_u32 v13, v1, v8
	v_mul_hi_u32 v12, v5, v10
	v_mul_lo_u32 v10, v5, v10
	v_mul_hi_u32 v14, v5, v8
	v_add_co_u32_e32 v9, vcc, v9, v11
	v_addc_co_u32_e32 v11, vcc, 0, v13, vcc
	v_mul_lo_u32 v8, v5, v8
	v_add_co_u32_e32 v9, vcc, v9, v10
	v_addc_co_u32_e32 v9, vcc, v11, v12, vcc
	v_addc_co_u32_e32 v10, vcc, 0, v14, vcc
	v_add_co_u32_e32 v8, vcc, v9, v8
	v_addc_co_u32_e32 v9, vcc, 0, v10, vcc
	v_add_co_u32_e32 v1, vcc, v1, v8
	v_addc_co_u32_e32 v5, vcc, v5, v9, vcc
	v_mul_lo_u32 v8, s0, v5
	v_mul_hi_u32 v9, s0, v1
	v_mul_lo_u32 v10, s1, v1
	v_mul_lo_u32 v11, s0, v1
	v_add_u32_e32 v8, v9, v8
	v_add_u32_e32 v8, v8, v10
	v_mul_lo_u32 v12, v1, v8
	v_mul_hi_u32 v13, v1, v11
	v_mul_hi_u32 v14, v1, v8
	;; [unrolled: 1-line block ×3, first 2 shown]
	v_mul_lo_u32 v11, v5, v11
	v_mul_hi_u32 v9, v5, v8
	v_add_co_u32_e32 v12, vcc, v13, v12
	v_addc_co_u32_e32 v13, vcc, 0, v14, vcc
	v_mul_lo_u32 v8, v5, v8
	v_add_co_u32_e32 v11, vcc, v12, v11
	v_addc_co_u32_e32 v10, vcc, v13, v10, vcc
	v_addc_co_u32_e32 v9, vcc, 0, v9, vcc
	v_add_co_u32_e32 v8, vcc, v10, v8
	v_addc_co_u32_e32 v9, vcc, 0, v9, vcc
	v_add_co_u32_e32 v1, vcc, v1, v8
	v_addc_co_u32_e32 v5, vcc, v5, v9, vcc
	v_mad_u64_u32 v[8:9], s[0:1], v6, v5, 0
	v_mul_hi_u32 v10, v6, v1
	v_add_co_u32_e32 v12, vcc, v10, v8
	v_addc_co_u32_e32 v13, vcc, 0, v9, vcc
	v_mad_u64_u32 v[8:9], s[0:1], v7, v1, 0
	v_mad_u64_u32 v[10:11], s[0:1], v7, v5, 0
	v_add_co_u32_e32 v1, vcc, v12, v8
	v_addc_co_u32_e32 v1, vcc, v13, v9, vcc
	v_addc_co_u32_e32 v5, vcc, 0, v11, vcc
	v_add_co_u32_e32 v1, vcc, v1, v10
	v_addc_co_u32_e32 v5, vcc, 0, v5, vcc
	v_mul_lo_u32 v10, s25, v1
	v_mul_lo_u32 v11, s24, v5
	v_mad_u64_u32 v[8:9], s[0:1], s24, v1, 0
	v_add3_u32 v9, v9, v11, v10
	v_sub_u32_e32 v10, v7, v9
	v_mov_b32_e32 v11, s25
	v_sub_co_u32_e32 v8, vcc, v6, v8
	v_subb_co_u32_e64 v10, s[0:1], v10, v11, vcc
	v_subrev_co_u32_e64 v11, s[0:1], s24, v8
	v_subbrev_co_u32_e64 v10, s[0:1], 0, v10, s[0:1]
	v_cmp_le_u32_e64 s[0:1], s25, v10
	v_cndmask_b32_e64 v12, 0, -1, s[0:1]
	v_cmp_le_u32_e64 s[0:1], s24, v11
	v_cndmask_b32_e64 v11, 0, -1, s[0:1]
	v_cmp_eq_u32_e64 s[0:1], s25, v10
	v_cndmask_b32_e64 v10, v12, v11, s[0:1]
	v_add_co_u32_e64 v11, s[0:1], 2, v1
	v_addc_co_u32_e64 v12, s[0:1], 0, v5, s[0:1]
	v_add_co_u32_e64 v13, s[0:1], 1, v1
	v_addc_co_u32_e64 v14, s[0:1], 0, v5, s[0:1]
	v_subb_co_u32_e32 v9, vcc, v7, v9, vcc
	v_cmp_ne_u32_e64 s[0:1], 0, v10
	v_cmp_le_u32_e32 vcc, s25, v9
	v_cndmask_b32_e64 v10, v14, v12, s[0:1]
	v_cndmask_b32_e64 v12, 0, -1, vcc
	v_cmp_le_u32_e32 vcc, s24, v8
	v_cndmask_b32_e64 v8, 0, -1, vcc
	v_cmp_eq_u32_e32 vcc, s25, v9
	v_cndmask_b32_e32 v8, v12, v8, vcc
	v_cmp_ne_u32_e32 vcc, 0, v8
	v_cndmask_b32_e32 v21, v5, v10, vcc
	v_cndmask_b32_e64 v5, v13, v11, s[0:1]
	v_cndmask_b32_e32 v20, v1, v5, vcc
.LBB0_4:                                ;   in Loop: Header=BB0_2 Depth=1
	s_andn2_saveexec_b64 s[0:1], s[26:27]
	s_cbranch_execz .LBB0_6
; %bb.5:                                ;   in Loop: Header=BB0_2 Depth=1
	v_cvt_f32_u32_e32 v1, s24
	s_sub_i32 s26, 0, s24
	v_mov_b32_e32 v21, v4
	v_rcp_iflag_f32_e32 v1, v1
	v_mul_f32_e32 v1, 0x4f7ffffe, v1
	v_cvt_u32_f32_e32 v1, v1
	v_mul_lo_u32 v5, s26, v1
	v_mul_hi_u32 v5, v1, v5
	v_add_u32_e32 v1, v1, v5
	v_mul_hi_u32 v1, v6, v1
	v_mul_lo_u32 v5, v1, s24
	v_add_u32_e32 v8, 1, v1
	v_sub_u32_e32 v5, v6, v5
	v_subrev_u32_e32 v9, s24, v5
	v_cmp_le_u32_e32 vcc, s24, v5
	v_cndmask_b32_e32 v5, v5, v9, vcc
	v_cndmask_b32_e32 v1, v1, v8, vcc
	v_add_u32_e32 v8, 1, v1
	v_cmp_le_u32_e32 vcc, s24, v5
	v_cndmask_b32_e32 v20, v1, v8, vcc
.LBB0_6:                                ;   in Loop: Header=BB0_2 Depth=1
	s_or_b64 exec, exec, s[0:1]
	v_mul_lo_u32 v1, v21, s24
	v_mul_lo_u32 v5, v20, s25
	v_mad_u64_u32 v[8:9], s[0:1], v20, s24, 0
	s_load_dwordx2 s[0:1], s[6:7], 0x0
	s_load_dwordx2 s[24:25], s[2:3], 0x0
	v_add3_u32 v1, v9, v5, v1
	v_sub_co_u32_e32 v5, vcc, v6, v8
	v_subb_co_u32_e32 v1, vcc, v7, v1, vcc
	s_waitcnt lgkmcnt(0)
	v_mul_lo_u32 v6, s0, v1
	v_mul_lo_u32 v7, s1, v5
	v_mad_u64_u32 v[2:3], s[0:1], s0, v5, v[2:3]
	s_add_u32 s22, s22, 1
	s_addc_u32 s23, s23, 0
	s_add_u32 s2, s2, 8
	v_mul_lo_u32 v1, s24, v1
	v_mul_lo_u32 v8, s25, v5
	v_mad_u64_u32 v[18:19], s[0:1], s24, v5, v[18:19]
	v_add3_u32 v3, v7, v3, v6
	s_addc_u32 s3, s3, 0
	v_mov_b32_e32 v5, s14
	s_add_u32 s6, s6, 8
	v_mov_b32_e32 v6, s15
	s_addc_u32 s7, s7, 0
	v_cmp_ge_u64_e32 vcc, s[22:23], v[5:6]
	s_add_u32 s20, s20, 8
	v_add3_u32 v19, v8, v19, v1
	s_addc_u32 s21, s21, 0
	s_cbranch_vccnz .LBB0_9
; %bb.7:                                ;   in Loop: Header=BB0_2 Depth=1
	v_mov_b32_e32 v6, v20
	v_mov_b32_e32 v7, v21
	s_branch .LBB0_2
.LBB0_8:
	v_mov_b32_e32 v19, v3
	v_mov_b32_e32 v21, v7
	;; [unrolled: 1-line block ×4, first 2 shown]
.LBB0_9:
	s_load_dwordx2 s[0:1], s[4:5], 0x28
	s_lshl_b64 s[6:7], s[14:15], 3
	s_add_u32 s2, s18, s6
	s_addc_u32 s3, s19, s7
                                        ; implicit-def: $vgpr24
                                        ; implicit-def: $vgpr22
                                        ; implicit-def: $vgpr42
                                        ; implicit-def: $vgpr26
                                        ; implicit-def: $vgpr48
                                        ; implicit-def: $vgpr46
                                        ; implicit-def: $vgpr44
                                        ; implicit-def: $vgpr36
                                        ; implicit-def: $vgpr32
                                        ; implicit-def: $vgpr34
                                        ; implicit-def: $vgpr30
                                        ; implicit-def: $vgpr28
                                        ; implicit-def: $vgpr38
                                        ; implicit-def: $vgpr40
	s_waitcnt lgkmcnt(0)
	v_cmp_gt_u64_e32 vcc, s[0:1], v[20:21]
	v_cmp_le_u64_e64 s[0:1], s[0:1], v[20:21]
	s_and_saveexec_b64 s[4:5], s[0:1]
	s_xor_b64 s[0:1], exec, s[4:5]
	s_cbranch_execz .LBB0_11
; %bb.10:
	v_mov_b32_e32 v1, 0
	v_or_b32_e32 v24, 0x80, v0
	v_or_b32_e32 v22, 0x100, v0
	;; [unrolled: 1-line block ×13, first 2 shown]
	v_mov_b32_e32 v25, v1
	v_mov_b32_e32 v23, v1
	;; [unrolled: 1-line block ×13, first 2 shown]
	v_or_b32_e32 v40, 0x700, v0
	v_mov_b32_e32 v41, v1
                                        ; implicit-def: $vgpr2_vgpr3
.LBB0_11:
	s_andn2_saveexec_b64 s[4:5], s[0:1]
	s_cbranch_execz .LBB0_13
; %bb.12:
	s_add_u32 s0, s16, s6
	s_addc_u32 s1, s17, s7
	s_load_dwordx2 s[0:1], s[0:1], 0x0
	v_lshlrev_b64 v[1:2], 2, v[2:3]
	v_mov_b32_e32 v8, s9
	v_lshlrev_b32_e32 v23, 2, v0
	v_or_b32_e32 v36, 0x380, v0
	s_waitcnt lgkmcnt(0)
	v_mul_lo_u32 v6, s1, v20
	v_mul_lo_u32 v7, s0, v21
	v_mad_u64_u32 v[4:5], s[0:1], s0, v20, 0
	v_lshlrev_b32_e32 v24, 2, v36
	v_or_b32_e32 v32, 0x400, v0
	v_add3_u32 v5, v5, v7, v6
	v_lshlrev_b64 v[3:4], 2, v[4:5]
	v_lshlrev_b32_e32 v5, 2, v32
	v_add_co_u32_e64 v3, s[0:1], s8, v3
	v_addc_co_u32_e64 v4, s[0:1], v8, v4, s[0:1]
	v_add_co_u32_e64 v17, s[0:1], v3, v1
	v_addc_co_u32_e64 v22, s[0:1], v4, v2, s[0:1]
	;; [unrolled: 2-line block ×4, first 2 shown]
	v_or_b32_e32 v34, 0x480, v0
	global_load_dword v25, v[1:2], off
	global_load_dword v27, v[1:2], off offset:512
	global_load_dword v29, v[1:2], off offset:1024
	;; [unrolled: 1-line block ×6, first 2 shown]
	global_load_dword v39, v[3:4], off
	v_add_co_u32_e64 v1, s[0:1], v17, v5
	v_lshlrev_b32_e32 v6, 2, v34
	v_addc_co_u32_e64 v2, s[0:1], 0, v22, s[0:1]
	v_or_b32_e32 v26, 0x500, v0
	v_add_co_u32_e64 v3, s[0:1], v17, v6
	v_lshlrev_b32_e32 v7, 2, v26
	v_addc_co_u32_e64 v4, s[0:1], 0, v22, s[0:1]
	v_or_b32_e32 v30, 0x580, v0
	;; [unrolled: 4-line block ×3, first 2 shown]
	v_add_co_u32_e64 v7, s[0:1], v17, v8
	v_addc_co_u32_e64 v8, s[0:1], 0, v22, s[0:1]
	v_lshlrev_b32_e32 v9, 2, v28
	v_add_co_u32_e64 v9, s[0:1], v17, v9
	v_or_b32_e32 v38, 0x680, v0
	v_addc_co_u32_e64 v10, s[0:1], 0, v22, s[0:1]
	v_lshlrev_b32_e32 v11, 2, v38
	v_or_b32_e32 v40, 0x700, v0
	v_add_co_u32_e64 v11, s[0:1], v17, v11
	v_addc_co_u32_e64 v12, s[0:1], 0, v22, s[0:1]
	v_lshlrev_b32_e32 v13, 2, v40
	v_add_co_u32_e64 v13, s[0:1], v17, v13
	v_addc_co_u32_e64 v14, s[0:1], 0, v22, s[0:1]
	v_or_b32_e32 v41, 0x1e00, v23
	v_add_co_u32_e64 v15, s[0:1], v17, v41
	v_addc_co_u32_e64 v16, s[0:1], 0, v22, s[0:1]
	global_load_dword v42, v[1:2], off
	global_load_dword v43, v[3:4], off
	;; [unrolled: 1-line block ×8, first 2 shown]
	v_or_b32_e32 v1, 0x2000, v23
	v_add_co_u32_e64 v1, s[0:1], v17, v1
	v_addc_co_u32_e64 v2, s[0:1], 0, v22, s[0:1]
	v_or_b32_e32 v3, 0x2200, v23
	v_add_co_u32_e64 v3, s[0:1], v17, v3
	v_addc_co_u32_e64 v4, s[0:1], 0, v22, s[0:1]
	;; [unrolled: 3-line block ×8, first 2 shown]
	global_load_dword v51, v[1:2], off
	global_load_dword v52, v[3:4], off
	;; [unrolled: 1-line block ×8, first 2 shown]
	v_or_b32_e32 v1, 0x3000, v23
	v_add_co_u32_e64 v1, s[0:1], v17, v1
	v_addc_co_u32_e64 v2, s[0:1], 0, v22, s[0:1]
	v_or_b32_e32 v3, 0x3200, v23
	v_add_co_u32_e64 v3, s[0:1], v17, v3
	v_addc_co_u32_e64 v4, s[0:1], 0, v22, s[0:1]
	;; [unrolled: 3-line block ×5, first 2 shown]
	global_load_dword v11, v[1:2], off
	global_load_dword v12, v[3:4], off
	;; [unrolled: 1-line block ×5, first 2 shown]
	v_or_b32_e32 v1, 0x3a00, v23
	v_add_co_u32_e64 v1, s[0:1], v17, v1
	v_addc_co_u32_e64 v2, s[0:1], 0, v22, s[0:1]
	global_load_dword v2, v[1:2], off
	v_add_u32_e32 v3, 0, v23
	v_add_u32_e32 v1, 0, v24
	s_waitcnt vmcnt(28)
	ds_write2st64_b32 v3, v25, v27 offset1:2
	s_waitcnt vmcnt(26)
	ds_write2st64_b32 v3, v29, v31 offset0:4 offset1:6
	s_waitcnt vmcnt(24)
	ds_write2st64_b32 v3, v33, v35 offset0:8 offset1:10
	s_waitcnt vmcnt(22)
	ds_write_b32 v1, v39
	s_waitcnt vmcnt(21)
	ds_write2st64_b32 v3, v37, v42 offset0:12 offset1:16
	s_waitcnt vmcnt(19)
	ds_write2st64_b32 v3, v43, v44 offset0:18 offset1:20
	;; [unrolled: 2-line block ×4, first 2 shown]
	v_add_u32_e32 v1, 0, v41
	s_waitcnt vmcnt(14)
	ds_write_b32 v1, v49
	s_waitcnt vmcnt(12)
	ds_write2st64_b32 v3, v51, v52 offset0:32 offset1:34
	s_waitcnt vmcnt(10)
	ds_write2st64_b32 v3, v53, v54 offset0:36 offset1:38
	v_mov_b32_e32 v1, 0
	v_or_b32_e32 v24, 0x80, v0
	v_mov_b32_e32 v25, v1
	v_add_u32_e32 v4, 0, v50
	v_or_b32_e32 v22, 0x100, v0
	v_mov_b32_e32 v23, v1
	v_or_b32_e32 v48, 0x180, v0
	v_mov_b32_e32 v49, v1
	;; [unrolled: 2-line block ×5, first 2 shown]
	v_mov_b32_e32 v37, v1
	v_mov_b32_e32 v33, v1
	;; [unrolled: 1-line block ×8, first 2 shown]
	s_waitcnt vmcnt(8)
	ds_write2st64_b32 v3, v55, v56 offset0:40 offset1:42
	s_waitcnt vmcnt(6)
	ds_write_b32 v4, v58
	s_waitcnt vmcnt(5)
	ds_write2st64_b32 v3, v57, v11 offset0:44 offset1:48
	s_waitcnt vmcnt(3)
	ds_write2st64_b32 v3, v12, v13 offset0:50 offset1:52
	;; [unrolled: 2-line block ×3, first 2 shown]
	s_waitcnt vmcnt(0)
	ds_write_b32 v3, v2 offset:14848
.LBB0_13:
	s_or_b64 exec, exec, s[4:5]
	v_lshlrev_b32_e32 v57, 2, v0
	v_add_u32_e32 v56, 0, v57
	s_load_dwordx2 s[2:3], s[2:3], 0x0
	s_waitcnt lgkmcnt(0)
	s_barrier
	ds_read2st64_b32 v[2:3], v56 offset0:4 offset1:6
	ds_read2st64_b32 v[4:5], v56 offset0:16 offset1:18
	;; [unrolled: 1-line block ×9, first 2 shown]
	s_movk_i32 s1, 0x3b9c
	s_movk_i32 s0, 0x38b4
	s_waitcnt lgkmcnt(5)
	v_sub_f16_sdwa v70, v9, v7 dst_sel:DWORD dst_unused:UNUSED_PAD src0_sel:WORD_1 src1_sel:WORD_1
	s_waitcnt lgkmcnt(1)
	v_sub_f16_e32 v52, v16, v14
	s_waitcnt lgkmcnt(0)
	v_sub_f16_e32 v53, v12, v50
	v_add_f16_e32 v66, v53, v52
	v_sub_f16_sdwa v52, v12, v50 dst_sel:DWORD dst_unused:UNUSED_PAD src0_sel:WORD_1 src1_sel:WORD_1
	v_sub_f16_sdwa v53, v16, v14 dst_sel:DWORD dst_unused:UNUSED_PAD src0_sel:WORD_1 src1_sel:WORD_1
	v_add_f16_e32 v67, v52, v53
	v_add_f16_e32 v52, v9, v7
	v_fma_f16 v68, v52, -0.5, v3
	v_sub_f16_sdwa v69, v5, v11 dst_sel:DWORD dst_unused:UNUSED_PAD src0_sel:WORD_1 src1_sel:WORD_1
	v_fma_f16 v52, v69, s1, v68
	v_sub_f16_e32 v53, v11, v7
	v_sub_f16_e32 v54, v5, v9
	s_movk_i32 s4, 0x34f2
	v_fma_f16 v52, v70, s0, v52
	v_add_f16_e32 v71, v54, v53
	v_fma_f16 v54, v71, s4, v52
	v_add_f16_sdwa v52, v9, v7 dst_sel:DWORD dst_unused:UNUSED_PAD src0_sel:WORD_1 src1_sel:WORD_1
	v_lshrrev_b32_e32 v73, 16, v3
	s_mov_b32 s6, 0xbb9c
	v_fma_f16 v74, v52, -0.5, v73
	v_sub_f16_e32 v75, v5, v11
	s_mov_b32 s5, 0xb8b4
	v_sub_f16_sdwa v53, v5, v9 dst_sel:DWORD dst_unused:UNUSED_PAD src0_sel:WORD_1 src1_sel:WORD_1
	v_sub_f16_sdwa v55, v11, v7 dst_sel:DWORD dst_unused:UNUSED_PAD src0_sel:WORD_1 src1_sel:WORD_1
	v_fma_f16 v52, v75, s6, v74
	v_sub_f16_e32 v76, v9, v7
	v_add_f16_e32 v72, v53, v55
	v_fma_f16 v52, v76, s5, v52
	v_fma_f16 v55, v72, s4, v52
	ds_read2st64_b32 v[52:53], v56 offset1:2
	s_movk_i32 s7, 0x3a79
	v_mul_f16_e32 v58, 0x3a79, v54
	v_mul_f16_e32 v54, 0xb8b4, v54
	v_fma_f16 v78, v55, s7, v54
	v_add_f16_e32 v54, v50, v14
	s_waitcnt lgkmcnt(0)
	v_fma_f16 v79, v54, -0.5, v52
	v_sub_f16_sdwa v80, v12, v16 dst_sel:DWORD dst_unused:UNUSED_PAD src0_sel:WORD_1 src1_sel:WORD_1
	v_fma_f16 v54, v80, s1, v79
	v_sub_f16_sdwa v81, v50, v14 dst_sel:DWORD dst_unused:UNUSED_PAD src0_sel:WORD_1 src1_sel:WORD_1
	v_fma_f16 v54, v81, s0, v54
	v_fma_f16 v82, v66, s4, v54
	v_add_f16_sdwa v54, v50, v14 dst_sel:DWORD dst_unused:UNUSED_PAD src0_sel:WORD_1 src1_sel:WORD_1
	v_lshrrev_b32_e32 v83, 16, v52
	v_fma_f16 v84, v54, -0.5, v83
	v_sub_f16_e32 v85, v12, v16
	v_fma_f16 v54, v85, s6, v84
	v_sub_f16_e32 v86, v50, v14
	v_fma_f16 v54, v86, s5, v54
	v_fma_f16 v77, v55, s0, v58
	;; [unrolled: 1-line block ×3, first 2 shown]
	v_add_f16_e32 v54, v82, v77
	v_add_f16_e32 v55, v87, v78
	v_pack_b32_f16 v88, v54, v55
	v_mul_u32_u24_e32 v54, 10, v0
	v_lshl_add_u32 v89, v54, 2, 0
	v_pk_add_f16 v54, v52, v12
	v_pk_add_f16 v54, v54, v50
	;; [unrolled: 1-line block ×9, first 2 shown]
	ds_read2st64_b32 v[54:55], v56 offset0:8 offset1:10
	ds_read2st64_b32 v[58:59], v56 offset0:20 offset1:22
	;; [unrolled: 1-line block ×5, first 2 shown]
	s_waitcnt lgkmcnt(0)
	s_barrier
	ds_write2_b32 v89, v92, v88 offset1:1
	v_sub_f16_e32 v88, v14, v16
	v_sub_f16_e32 v92, v50, v12
	v_add_f16_e32 v88, v92, v88
	v_add_f16_e32 v92, v12, v16
	v_fma_f16 v52, v92, -0.5, v52
	v_fma_f16 v92, v81, s6, v52
	v_fma_f16 v52, v81, s1, v52
	;; [unrolled: 1-line block ×6, first 2 shown]
	v_add_f16_sdwa v88, v12, v16 dst_sel:DWORD dst_unused:UNUSED_PAD src0_sel:WORD_1 src1_sel:WORD_1
	v_fma_f16 v83, v88, -0.5, v83
	v_sub_f16_sdwa v12, v50, v12 dst_sel:DWORD dst_unused:UNUSED_PAD src0_sel:WORD_1 src1_sel:WORD_1
	v_sub_f16_sdwa v14, v14, v16 dst_sel:DWORD dst_unused:UNUSED_PAD src0_sel:WORD_1 src1_sel:WORD_1
	v_add_f16_e32 v12, v12, v14
	v_fma_f16 v14, v86, s1, v83
	v_fma_f16 v16, v86, s6, v83
	;; [unrolled: 1-line block ×6, first 2 shown]
	v_sub_f16_e32 v16, v7, v11
	v_sub_f16_e32 v50, v9, v5
	v_add_f16_e32 v16, v50, v16
	v_add_f16_e32 v50, v5, v11
	v_fma_f16 v3, v50, -0.5, v3
	v_fma_f16 v50, v70, s6, v3
	v_fma_f16 v3, v70, s1, v3
	;; [unrolled: 1-line block ×6, first 2 shown]
	v_add_f16_sdwa v16, v5, v11 dst_sel:DWORD dst_unused:UNUSED_PAD src0_sel:WORD_1 src1_sel:WORD_1
	v_fma_f16 v16, v16, -0.5, v73
	v_sub_f16_sdwa v5, v9, v5 dst_sel:DWORD dst_unused:UNUSED_PAD src0_sel:WORD_1 src1_sel:WORD_1
	v_sub_f16_sdwa v7, v7, v11 dst_sel:DWORD dst_unused:UNUSED_PAD src0_sel:WORD_1 src1_sel:WORD_1
	v_add_f16_e32 v5, v5, v7
	v_fma_f16 v7, v76, s1, v16
	v_fma_f16 v7, v75, s5, v7
	;; [unrolled: 1-line block ×5, first 2 shown]
	v_mul_f16_e32 v11, 0xbb9c, v50
	v_fma_f16 v5, v5, s4, v9
	v_mul_f16_e32 v9, 0x3b9c, v7
	v_fma_f16 v7, v7, s4, v11
	v_mul_f16_e32 v11, 0x34f2, v3
	v_fma_f16 v11, v5, s1, -v11
	v_mul_f16_e32 v5, 0x34f2, v5
	v_fma_f16 v3, v3, s6, -v5
	v_fma_f16 v9, v50, s4, v9
	v_add_f16_e32 v5, v52, v11
	v_add_f16_e32 v16, v12, v3
	v_pack_b32_f16 v5, v5, v16
	v_add_f16_e32 v16, v92, v9
	v_add_f16_e32 v50, v14, v7
	v_pack_b32_f16 v16, v16, v50
	ds_write2_b32 v89, v16, v5 offset0:2 offset1:3
	v_fma_f16 v5, v80, s6, v79
	v_fma_f16 v5, v81, s5, v5
	;; [unrolled: 1-line block ×12, first 2 shown]
	v_mul_f16_e32 v67, 0x3a79, v50
	v_fma_f16 v67, v66, s0, -v67
	v_mul_f16_e32 v66, 0x3a79, v66
	v_fma_f16 v50, v50, s5, -v66
	v_add_f16_e32 v68, v5, v67
	v_add_f16_e32 v69, v16, v50
	v_pk_add_f16 v66, v90, v91 neg_lo:[0,1] neg_hi:[0,1]
	v_pack_b32_f16 v68, v68, v69
	ds_write2_b32 v89, v68, v66 offset0:4 offset1:5
	v_sub_f16_e32 v66, v82, v77
	v_sub_f16_e32 v9, v92, v9
	;; [unrolled: 1-line block ×4, first 2 shown]
	v_pack_b32_f16 v14, v66, v68
	v_pack_b32_f16 v7, v9, v7
	ds_write2_b32 v89, v14, v7 offset0:6 offset1:7
	v_sub_f16_e32 v7, v52, v11
	v_sub_f16_e32 v5, v5, v67
	;; [unrolled: 1-line block ×4, first 2 shown]
	v_pack_b32_f16 v5, v5, v9
	v_pack_b32_f16 v3, v7, v3
	ds_write2_b32 v89, v3, v5 offset0:8 offset1:9
	v_pk_add_f16 v3, v2, v4
	v_pk_add_f16 v3, v3, v8
	;; [unrolled: 1-line block ×3, first 2 shown]
	v_add_f16_e32 v5, v8, v6
	v_sub_f16_sdwa v7, v8, v6 dst_sel:DWORD dst_unused:UNUSED_PAD src0_sel:WORD_1 src1_sel:WORD_1
	v_sub_f16_e32 v9, v4, v8
	v_sub_f16_e32 v11, v8, v4
	v_add_f16_sdwa v12, v8, v6 dst_sel:DWORD dst_unused:UNUSED_PAD src0_sel:WORD_1 src1_sel:WORD_1
	v_sub_f16_e32 v14, v8, v6
	v_sub_f16_sdwa v16, v4, v8 dst_sel:DWORD dst_unused:UNUSED_PAD src0_sel:WORD_1 src1_sel:WORD_1
	v_sub_f16_sdwa v8, v8, v4 dst_sel:DWORD dst_unused:UNUSED_PAD src0_sel:WORD_1 src1_sel:WORD_1
	;; [unrolled: 1-line block ×3, first 2 shown]
	v_add_f16_e32 v52, v4, v10
	v_sub_f16_e32 v66, v4, v10
	v_add_f16_sdwa v4, v4, v10 dst_sel:DWORD dst_unused:UNUSED_PAD src0_sel:WORD_1 src1_sel:WORD_1
	v_sub_f16_e32 v67, v10, v6
	v_sub_f16_e32 v68, v6, v10
	v_sub_f16_sdwa v69, v10, v6 dst_sel:DWORD dst_unused:UNUSED_PAD src0_sel:WORD_1 src1_sel:WORD_1
	v_sub_f16_sdwa v6, v6, v10 dst_sel:DWORD dst_unused:UNUSED_PAD src0_sel:WORD_1 src1_sel:WORD_1
	v_pk_add_f16 v3, v3, v10
	v_pk_add_f16 v10, v53, v13
	;; [unrolled: 1-line block ×4, first 2 shown]
	v_add_f16_e32 v70, v51, v15
	v_sub_f16_sdwa v71, v51, v15 dst_sel:DWORD dst_unused:UNUSED_PAD src0_sel:WORD_1 src1_sel:WORD_1
	v_sub_f16_e32 v72, v13, v51
	v_sub_f16_e32 v73, v51, v13
	v_add_f16_sdwa v74, v51, v15 dst_sel:DWORD dst_unused:UNUSED_PAD src0_sel:WORD_1 src1_sel:WORD_1
	v_sub_f16_e32 v75, v51, v15
	v_sub_f16_sdwa v76, v13, v51 dst_sel:DWORD dst_unused:UNUSED_PAD src0_sel:WORD_1 src1_sel:WORD_1
	v_sub_f16_sdwa v51, v51, v13 dst_sel:DWORD dst_unused:UNUSED_PAD src0_sel:WORD_1 src1_sel:WORD_1
	v_sub_f16_sdwa v77, v13, v17 dst_sel:DWORD dst_unused:UNUSED_PAD src0_sel:WORD_1 src1_sel:WORD_1
	v_add_f16_e32 v78, v13, v17
	v_sub_f16_e32 v79, v13, v17
	v_add_f16_sdwa v13, v13, v17 dst_sel:DWORD dst_unused:UNUSED_PAD src0_sel:WORD_1 src1_sel:WORD_1
	v_sub_f16_e32 v80, v17, v15
	v_sub_f16_e32 v81, v15, v17
	v_sub_f16_sdwa v82, v17, v15 dst_sel:DWORD dst_unused:UNUSED_PAD src0_sel:WORD_1 src1_sel:WORD_1
	v_sub_f16_sdwa v15, v15, v17 dst_sel:DWORD dst_unused:UNUSED_PAD src0_sel:WORD_1 src1_sel:WORD_1
	v_pk_add_f16 v10, v10, v17
	v_pk_add_f16 v17, v55, v59
	;; [unrolled: 1-line block ×6, first 2 shown]
	v_add_f16_e32 v84, v61, v63
	v_sub_f16_sdwa v85, v61, v63 dst_sel:DWORD dst_unused:UNUSED_PAD src0_sel:WORD_1 src1_sel:WORD_1
	v_sub_f16_e32 v86, v59, v61
	v_sub_f16_e32 v87, v61, v59
	v_add_f16_sdwa v88, v61, v63 dst_sel:DWORD dst_unused:UNUSED_PAD src0_sel:WORD_1 src1_sel:WORD_1
	v_sub_f16_e32 v89, v61, v63
	v_sub_f16_sdwa v90, v59, v61 dst_sel:DWORD dst_unused:UNUSED_PAD src0_sel:WORD_1 src1_sel:WORD_1
	v_sub_f16_sdwa v61, v61, v59 dst_sel:DWORD dst_unused:UNUSED_PAD src0_sel:WORD_1 src1_sel:WORD_1
	;; [unrolled: 1-line block ×3, first 2 shown]
	v_add_f16_e32 v99, v59, v65
	v_sub_f16_e32 v100, v59, v65
	v_add_f16_sdwa v101, v59, v65 dst_sel:DWORD dst_unused:UNUSED_PAD src0_sel:WORD_1 src1_sel:WORD_1
	v_pk_add_f16 v59, v83, v62
	v_sub_f16_e32 v83, v65, v63
	v_sub_f16_e32 v105, v63, v65
	v_sub_f16_sdwa v106, v65, v63 dst_sel:DWORD dst_unused:UNUSED_PAD src0_sel:WORD_1 src1_sel:WORD_1
	v_sub_f16_sdwa v63, v63, v65 dst_sel:DWORD dst_unused:UNUSED_PAD src0_sel:WORD_1 src1_sel:WORD_1
	v_pk_add_f16 v17, v17, v65
	v_add_f16_e32 v65, v72, v80
	v_fma_f16 v70, v70, -0.5, v53
	v_fma_f16 v72, v78, -0.5, v53
	v_lshrrev_b32_e32 v53, 16, v53
	v_add_f16_e32 v103, v58, v64
	v_fma_f16 v13, v13, -0.5, v53
	v_add_f16_e32 v91, v60, v62
	v_sub_f16_sdwa v92, v60, v62 dst_sel:DWORD dst_unused:UNUSED_PAD src0_sel:WORD_1 src1_sel:WORD_1
	v_fma_f16 v74, v74, -0.5, v53
	v_add_f16_e32 v15, v51, v15
	v_fma_f16 v51, v75, s1, v13
	v_fma_f16 v13, v75, s6, v13
	v_fma_f16 v53, v103, -0.5, v54
	v_sub_f16_e32 v94, v60, v58
	v_sub_f16_sdwa v102, v58, v64 dst_sel:DWORD dst_unused:UNUSED_PAD src0_sel:WORD_1 src1_sel:WORD_1
	v_sub_f16_e32 v108, v62, v64
	v_add_f16_e32 v76, v76, v82
	v_fma_f16 v82, v91, -0.5, v54
	v_lshrrev_b32_e32 v91, 16, v54
	v_fma_f16 v51, v79, s5, v51
	v_fma_f16 v13, v79, s0, v13
	;; [unrolled: 1-line block ×4, first 2 shown]
	v_sub_f16_e32 v93, v58, v60
	v_add_f16_sdwa v95, v60, v62 dst_sel:DWORD dst_unused:UNUSED_PAD src0_sel:WORD_1 src1_sel:WORD_1
	v_sub_f16_e32 v96, v60, v62
	v_sub_f16_sdwa v97, v58, v60 dst_sel:DWORD dst_unused:UNUSED_PAD src0_sel:WORD_1 src1_sel:WORD_1
	v_sub_f16_sdwa v60, v60, v58 dst_sel:DWORD dst_unused:UNUSED_PAD src0_sel:WORD_1 src1_sel:WORD_1
	v_sub_f16_e32 v104, v58, v64
	v_add_f16_sdwa v58, v58, v64 dst_sel:DWORD dst_unused:UNUSED_PAD src0_sel:WORD_1 src1_sel:WORD_1
	v_sub_f16_e32 v107, v64, v62
	v_fma_f16 v51, v15, s4, v51
	v_fma_f16 v13, v15, s4, v13
	v_add_f16_e32 v15, v94, v108
	v_fma_f16 v54, v102, s0, v54
	v_fma_f16 v53, v102, s5, v53
	v_sub_f16_sdwa v109, v64, v62 dst_sel:DWORD dst_unused:UNUSED_PAD src0_sel:WORD_1 src1_sel:WORD_1
	v_sub_f16_sdwa v62, v62, v64 dst_sel:DWORD dst_unused:UNUSED_PAD src0_sel:WORD_1 src1_sel:WORD_1
	v_pk_add_f16 v64, v59, v64
	v_add_f16_e32 v78, v93, v107
	v_fma_f16 v59, v102, s1, v82
	v_fma_f16 v93, v95, -0.5, v91
	v_fma_f16 v54, v15, s4, v54
	v_fma_f16 v15, v15, s4, v53
	v_fma_f16 v53, v58, -0.5, v91
	v_fma_f16 v59, v92, s0, v59
	v_fma_f16 v95, v104, s6, v93
	v_add_f16_e32 v58, v60, v62
	v_fma_f16 v60, v96, s1, v53
	v_add_f16_e32 v80, v97, v109
	v_fma_f16 v59, v78, s4, v59
	v_fma_f16 v95, v96, s5, v95
	;; [unrolled: 1-line block ×5, first 2 shown]
	v_mul_f16_e32 v97, 0x3a79, v59
	v_mul_f16_e32 v59, 0xb8b4, v59
	v_fma_f16 v60, v58, s4, v60
	v_fma_f16 v53, v104, s0, v53
	;; [unrolled: 1-line block ×6, first 2 shown]
	v_mul_f16_e32 v58, 0x3b9c, v60
	v_fma_f16 v59, v71, s0, v59
	v_fma_f16 v58, v54, s4, v58
	v_mul_f16_e32 v54, 0xbb9c, v54
	v_fma_f16 v107, v65, s4, v59
	v_fma_f16 v59, v79, s6, v74
	v_add_f16_e32 v73, v73, v81
	v_fma_f16 v81, v71, s6, v72
	v_fma_f16 v72, v71, s1, v72
	;; [unrolled: 1-line block ×3, first 2 shown]
	v_mul_f16_e32 v60, 0x34f2, v15
	v_fma_f16 v59, v75, s5, v59
	v_fma_f16 v72, v77, s5, v72
	v_fma_f16 v60, v53, s1, -v60
	v_mul_f16_e32 v53, 0x34f2, v53
	v_fma_f16 v109, v76, s4, v59
	v_fma_f16 v81, v77, s0, v81
	;; [unrolled: 1-line block ×3, first 2 shown]
	v_fma_f16 v15, v15, s6, -v53
	v_add_f16_e32 v59, v107, v97
	v_add_f16_e32 v110, v109, v95
	v_fma_f16 v81, v73, s4, v81
	v_add_f16_e32 v53, v72, v60
	v_add_f16_e32 v62, v13, v15
	v_pack_b32_f16 v110, v59, v110
	v_mul_i32_i24_e32 v59, 10, v24
	v_pack_b32_f16 v53, v53, v62
	v_add_f16_e32 v62, v81, v58
	v_add_f16_e32 v73, v51, v54
	v_lshl_add_u32 v59, v59, 2, 0
	v_pack_b32_f16 v62, v62, v73
	ds_write2_b32 v59, v62, v53 offset0:2 offset1:3
	v_fma_f16 v53, v77, s6, v70
	v_fma_f16 v53, v71, s5, v53
	;; [unrolled: 1-line block ×10, first 2 shown]
	v_mul_f16_e32 v71, 0x3a79, v65
	v_fma_f16 v62, v75, s0, v62
	v_fma_f16 v71, v70, s0, -v71
	v_mul_f16_e32 v70, 0x3a79, v70
	v_fma_f16 v62, v76, s4, v62
	v_fma_f16 v65, v65, s5, -v70
	v_pk_add_f16 v111, v10, v64
	v_pk_add_f16 v10, v10, v64 neg_lo:[0,1] neg_hi:[0,1]
	v_add_f16_e32 v64, v53, v71
	v_add_f16_e32 v70, v62, v65
	v_pack_b32_f16 v64, v64, v70
	v_fma_f16 v5, v5, -0.5, v2
	ds_write2_b32 v59, v64, v10 offset0:4 offset1:5
	v_fma_f16 v10, v50, s1, v5
	v_fma_f16 v5, v50, s6, v5
	v_add_f16_e32 v9, v9, v67
	v_fma_f16 v10, v7, s0, v10
	v_fma_f16 v5, v7, s5, v5
	;; [unrolled: 1-line block ×4, first 2 shown]
	v_add_f16_e32 v9, v11, v68
	v_fma_f16 v11, v52, -0.5, v2
	v_fma_f16 v52, v7, s6, v11
	v_fma_f16 v7, v7, s1, v11
	v_lshrrev_b32_e32 v2, 16, v2
	v_fma_f16 v11, v50, s0, v52
	v_fma_f16 v7, v50, s5, v7
	v_fma_f16 v12, v12, -0.5, v2
	v_fma_f16 v11, v9, s4, v11
	v_fma_f16 v7, v9, s4, v7
	v_add_f16_e32 v9, v16, v69
	v_fma_f16 v16, v66, s6, v12
	v_fma_f16 v12, v66, s1, v12
	v_fma_f16 v2, v4, -0.5, v2
	v_fma_f16 v16, v14, s5, v16
	v_fma_f16 v12, v14, s0, v12
	v_add_f16_e32 v4, v8, v6
	v_fma_f16 v6, v14, s1, v2
	v_fma_f16 v2, v14, s6, v2
	v_fma_f16 v8, v84, -0.5, v55
	v_fma_f16 v16, v9, s4, v16
	v_fma_f16 v9, v9, s4, v12
	;; [unrolled: 1-line block ×6, first 2 shown]
	v_fma_f16 v14, v99, -0.5, v55
	v_fma_f16 v6, v4, s4, v6
	v_fma_f16 v2, v4, s4, v2
	v_add_f16_e32 v4, v86, v83
	v_fma_f16 v12, v85, s0, v12
	v_fma_f16 v8, v85, s5, v8
	;; [unrolled: 1-line block ×6, first 2 shown]
	v_add_f16_e32 v8, v87, v105
	v_fma_f16 v50, v98, s0, v50
	v_fma_f16 v14, v98, s5, v14
	;; [unrolled: 1-line block ×4, first 2 shown]
	v_lshrrev_b32_e32 v14, 16, v55
	v_fma_f16 v55, v88, -0.5, v14
	v_fma_f16 v64, v100, s6, v55
	v_fma_f16 v55, v100, s1, v55
	v_add_f16_e32 v52, v90, v106
	v_fma_f16 v64, v89, s5, v64
	v_fma_f16 v55, v89, s0, v55
	v_fma_f16 v14, v101, -0.5, v14
	v_fma_f16 v64, v52, s4, v64
	v_fma_f16 v52, v52, s4, v55
	v_add_f16_e32 v55, v61, v63
	v_fma_f16 v61, v89, s1, v14
	v_fma_f16 v61, v100, s5, v61
	;; [unrolled: 1-line block ×4, first 2 shown]
	v_mul_f16_e32 v63, 0x3b9c, v61
	v_fma_f16 v14, v100, s0, v14
	v_fma_f16 v63, v50, s4, v63
	v_mul_f16_e32 v50, 0xbb9c, v50
	v_fma_f16 v14, v55, s4, v14
	v_fma_f16 v50, v61, s4, v50
	v_mul_f16_e32 v61, 0x34f2, v8
	v_fma_f16 v61, v14, s1, -v61
	v_mul_f16_e32 v14, 0x34f2, v14
	v_fma_f16 v8, v8, s6, -v14
	v_mul_f16_e32 v14, 0x3a79, v4
	v_mul_f16_e32 v55, 0x3a79, v12
	;; [unrolled: 1-line block ×3, first 2 shown]
	v_fma_f16 v14, v52, s0, -v14
	v_mul_f16_e32 v52, 0x3a79, v52
	v_fma_f16 v12, v64, s7, v12
	v_fma_f16 v4, v4, s5, -v52
	v_fma_f16 v55, v64, s0, v55
	v_add_f16_e32 v64, v7, v61
	v_sub_f16_e32 v7, v7, v61
	v_add_f16_e32 v61, v5, v14
	v_sub_f16_e32 v5, v5, v14
	;; [unrolled: 2-line block ×6, first 2 shown]
	v_sub_f16_e32 v9, v107, v97
	v_sub_f16_e32 v58, v81, v58
	;; [unrolled: 1-line block ×8, first 2 shown]
	v_mul_i32_i24_e32 v54, 10, v22
	v_pack_b32_f16 v9, v9, v66
	v_pack_b32_f16 v51, v58, v51
	v_add_f16_e32 v52, v10, v55
	v_sub_f16_e32 v10, v10, v55
	v_add_f16_e32 v55, v11, v63
	v_sub_f16_e32 v11, v11, v63
	v_lshl_add_u32 v63, v54, 2, 0
	v_pk_add_f16 v54, v3, v17
	ds_write2_b32 v59, v9, v51 offset0:6 offset1:7
	v_pack_b32_f16 v9, v53, v15
	v_pack_b32_f16 v13, v60, v13
	v_pk_add_f16 v3, v3, v17 neg_lo:[0,1] neg_hi:[0,1]
	v_pack_b32_f16 v8, v61, v8
	ds_write2_b32 v59, v111, v110 offset1:1
	ds_write2_b32 v59, v13, v9 offset0:8 offset1:9
	ds_write2_b32 v63, v8, v3 offset0:4 offset1:5
	v_pack_b32_f16 v3, v10, v12
	v_pack_b32_f16 v6, v11, v6
	ds_write2_b32 v63, v3, v6 offset0:6 offset1:7
	v_pack_b32_f16 v3, v5, v4
	v_pack_b32_f16 v2, v7, v2
	s_movk_i32 s0, 0xcd
	ds_write2_b32 v63, v2, v3 offset0:8 offset1:9
	v_mul_lo_u16_sdwa v2, v0, s0 dst_sel:DWORD dst_unused:UNUSED_PAD src0_sel:BYTE_0 src1_sel:DWORD
	v_lshrrev_b16_e32 v70, 11, v2
	v_mul_lo_u16_e32 v2, 10, v70
	v_sub_u16_e32 v71, v0, v2
	v_mov_b32_e32 v6, 5
	v_pack_b32_f16 v9, v52, v14
	v_mul_u32_u24_sdwa v2, v71, v6 dst_sel:DWORD dst_unused:UNUSED_PAD src0_sel:BYTE_0 src1_sel:DWORD
	ds_write2_b32 v63, v54, v9 offset1:1
	v_pack_b32_f16 v9, v64, v50
	v_pack_b32_f16 v13, v55, v16
	v_lshlrev_b32_e32 v72, 2, v2
	ds_write2_b32 v63, v13, v9 offset0:2 offset1:3
	s_waitcnt lgkmcnt(0)
	s_barrier
	global_load_dwordx4 v[2:5], v72, s[12:13]
	v_mul_lo_u16_sdwa v7, v24, s0 dst_sel:DWORD dst_unused:UNUSED_PAD src0_sel:BYTE_0 src1_sel:DWORD
	v_lshrrev_b16_e32 v68, 11, v7
	v_mul_lo_u16_e32 v7, 10, v68
	v_sub_u16_e32 v69, v24, v7
	v_mul_u32_u24_sdwa v6, v69, v6 dst_sel:DWORD dst_unused:UNUSED_PAD src0_sel:BYTE_0 src1_sel:DWORD
	v_lshlrev_b32_e32 v73, 2, v6
	global_load_dwordx4 v[6:9], v73, s[12:13]
	s_mov_b32 s0, 0xcccd
	v_mul_u32_u24_sdwa v10, v22, s0 dst_sel:DWORD dst_unused:UNUSED_PAD src0_sel:WORD_0 src1_sel:DWORD
	v_lshrrev_b32_e32 v66, 19, v10
	v_mul_lo_u16_e32 v10, 10, v66
	v_sub_u16_e32 v67, v22, v10
	v_mul_u32_u24_e32 v10, 5, v67
	v_lshlrev_b32_e32 v74, 2, v10
	global_load_dwordx4 v[10:13], v74, s[12:13]
	v_mul_u32_u24_sdwa v14, v48, s0 dst_sel:DWORD dst_unused:UNUSED_PAD src0_sel:WORD_0 src1_sel:DWORD
	v_lshrrev_b32_e32 v54, 19, v14
	v_mul_lo_u16_e32 v14, 10, v54
	v_sub_u16_e32 v55, v48, v14
	v_lshl_add_u32 v60, v42, 2, 0
	v_mul_u32_u24_e32 v14, 5, v55
	v_lshl_add_u32 v58, v26, 2, 0
	ds_read2st64_b32 v[50:51], v56 offset0:28 offset1:30
	v_lshl_add_u32 v62, v48, 2, 0
	v_lshl_add_u32 v61, v46, 2, 0
	ds_read_b32 v77, v60
	ds_read_b32 v76, v58
	ds_read_b32 v53, v62
	ds_read_b32 v52, v61
	v_lshlrev_b32_e32 v75, 2, v14
	s_movk_i32 s1, 0xffdc
	global_load_dwordx4 v[14:17], v75, s[12:13]
	v_mad_i32_i24 v64, v22, s1, v63
	s_waitcnt lgkmcnt(3)
	v_lshrrev_b32_e32 v79, 16, v77
	v_mad_i32_i24 v65, v24, s1, v59
	ds_read_b32 v82, v64
	ds_read_b32 v83, v65
	global_load_dword v85, v72, s[12:13] offset:16
	global_load_dword v94, v73, s[12:13] offset:16
	s_waitcnt lgkmcnt(4)
	v_lshrrev_b32_e32 v78, 16, v76
	global_load_dword v74, v74, s[12:13] offset:16
	v_lshrrev_b32_e32 v84, 16, v51
	ds_read2st64_b32 v[80:81], v56 offset0:40 offset1:42
	s_movk_i32 s1, 0x3aee
	v_mul_u32_u24_e32 v68, 0xf0, v68
	v_mul_u32_u24_e32 v66, 0xf0, v66
	v_lshlrev_b32_e32 v67, 2, v67
	v_add3_u32 v66, 0, v66, v67
	s_mov_b32 s4, 0xffff
	s_add_u32 s6, s12, 0x3bd8
	s_addc_u32 s7, s13, 0
	s_waitcnt vmcnt(6)
	v_mul_f16_sdwa v72, v2, v79 dst_sel:DWORD dst_unused:UNUSED_PAD src0_sel:WORD_1 src1_sel:DWORD
	v_fma_f16 v86, v2, v77, -v72
	v_mul_f16_sdwa v72, v2, v77 dst_sel:DWORD dst_unused:UNUSED_PAD src0_sel:WORD_1 src1_sel:DWORD
	v_fma_f16 v87, v2, v79, v72
	v_mul_f16_sdwa v2, v78, v3 dst_sel:DWORD dst_unused:UNUSED_PAD src0_sel:DWORD src1_sel:WORD_1
	v_fma_f16 v88, v76, v3, -v2
	v_mul_f16_sdwa v2, v76, v3 dst_sel:DWORD dst_unused:UNUSED_PAD src0_sel:DWORD src1_sel:WORD_1
	v_fma_f16 v89, v78, v3, v2
	v_mul_f16_sdwa v2, v51, v4 dst_sel:DWORD dst_unused:UNUSED_PAD src0_sel:DWORD src1_sel:WORD_1
	v_fma_f16 v90, v84, v4, v2
	v_mul_u32_u24_sdwa v2, v46, s0 dst_sel:DWORD dst_unused:UNUSED_PAD src0_sel:WORD_0 src1_sel:DWORD
	v_lshrrev_b32_e32 v91, 19, v2
	v_mul_lo_u16_e32 v2, 10, v91
	v_sub_u16_e32 v92, v46, v2
	v_mul_u32_u24_e32 v2, 5, v92
	v_lshlrev_b32_e32 v93, 2, v2
	global_load_dwordx4 v[76:79], v93, s[12:13]
	v_mul_f16_sdwa v2, v84, v4 dst_sel:DWORD dst_unused:UNUSED_PAD src0_sel:DWORD src1_sel:WORD_1
	v_fma_f16 v51, v51, v4, -v2
	s_waitcnt lgkmcnt(0)
	v_lshrrev_b32_e32 v2, 16, v80
	v_mul_f16_sdwa v3, v80, v5 dst_sel:DWORD dst_unused:UNUSED_PAD src0_sel:DWORD src1_sel:WORD_1
	v_fma_f16 v84, v2, v5, v3
	v_mul_f16_sdwa v2, v2, v5 dst_sel:DWORD dst_unused:UNUSED_PAD src0_sel:DWORD src1_sel:WORD_1
	v_fma_f16 v80, v80, v5, -v2
	ds_read2st64_b32 v[2:3], v56 offset1:12
	v_lshrrev_b32_e32 v4, 16, v81
	s_waitcnt vmcnt(6)
	v_mul_f16_sdwa v5, v4, v9 dst_sel:DWORD dst_unused:UNUSED_PAD src0_sel:DWORD src1_sel:WORD_1
	v_fma_f16 v95, v81, v9, -v5
	v_mul_f16_sdwa v5, v81, v9 dst_sel:DWORD dst_unused:UNUSED_PAD src0_sel:DWORD src1_sel:WORD_1
	v_fma_f16 v81, v4, v9, v5
	ds_read2st64_b32 v[4:5], v56 offset0:18 offset1:22
	s_waitcnt lgkmcnt(1)
	v_lshrrev_b32_e32 v9, 16, v3
	v_mul_f16_sdwa v72, v3, v6 dst_sel:DWORD dst_unused:UNUSED_PAD src0_sel:DWORD src1_sel:WORD_1
	v_fma_f16 v96, v9, v6, v72
	ds_read2st64_b32 v[72:73], v56 offset0:32 offset1:34
	v_mul_f16_sdwa v9, v9, v6 dst_sel:DWORD dst_unused:UNUSED_PAD src0_sel:DWORD src1_sel:WORD_1
	v_fma_f16 v97, v3, v6, -v9
	s_waitcnt lgkmcnt(1)
	v_lshrrev_b32_e32 v3, 16, v5
	v_mul_f16_sdwa v6, v5, v7 dst_sel:DWORD dst_unused:UNUSED_PAD src0_sel:DWORD src1_sel:WORD_1
	v_fma_f16 v98, v3, v7, v6
	v_mul_f16_sdwa v3, v3, v7 dst_sel:DWORD dst_unused:UNUSED_PAD src0_sel:DWORD src1_sel:WORD_1
	v_fma_f16 v99, v5, v7, -v3
	s_waitcnt lgkmcnt(0)
	v_lshrrev_b32_e32 v3, 16, v72
	v_mul_f16_sdwa v5, v72, v8 dst_sel:DWORD dst_unused:UNUSED_PAD src0_sel:DWORD src1_sel:WORD_1
	v_fma_f16 v100, v3, v8, v5
	ds_read2st64_b32 v[5:6], v56 offset0:14 offset1:16
	v_mul_f16_sdwa v3, v3, v8 dst_sel:DWORD dst_unused:UNUSED_PAD src0_sel:DWORD src1_sel:WORD_1
	v_fma_f16 v72, v72, v8, -v3
	v_lshrrev_b32_e32 v3, 16, v73
	s_waitcnt vmcnt(5)
	v_mul_f16_sdwa v7, v3, v12 dst_sel:DWORD dst_unused:UNUSED_PAD src0_sel:DWORD src1_sel:WORD_1
	v_fma_f16 v101, v73, v12, -v7
	v_mul_f16_sdwa v7, v73, v12 dst_sel:DWORD dst_unused:UNUSED_PAD src0_sel:DWORD src1_sel:WORD_1
	v_fma_f16 v12, v3, v12, v7
	s_waitcnt lgkmcnt(0)
	v_lshrrev_b32_e32 v3, 16, v5
	ds_read2st64_b32 v[7:8], v56 offset0:24 offset1:26
	v_mul_f16_sdwa v9, v5, v10 dst_sel:DWORD dst_unused:UNUSED_PAD src0_sel:DWORD src1_sel:WORD_1
	v_fma_f16 v73, v3, v10, v9
	v_mul_f16_sdwa v3, v3, v10 dst_sel:DWORD dst_unused:UNUSED_PAD src0_sel:DWORD src1_sel:WORD_1
	v_fma_f16 v102, v5, v10, -v3
	ds_read2st64_b32 v[9:10], v56 offset0:44 offset1:46
	s_waitcnt lgkmcnt(1)
	v_lshrrev_b32_e32 v3, 16, v7
	v_mul_f16_sdwa v5, v7, v11 dst_sel:DWORD dst_unused:UNUSED_PAD src0_sel:DWORD src1_sel:WORD_1
	v_fma_f16 v103, v3, v11, v5
	v_mul_f16_sdwa v3, v3, v11 dst_sel:DWORD dst_unused:UNUSED_PAD src0_sel:DWORD src1_sel:WORD_1
	v_fma_f16 v7, v7, v11, -v3
	s_waitcnt lgkmcnt(0)
	v_lshrrev_b32_e32 v3, 16, v9
	v_mul_f16_sdwa v5, v9, v13 dst_sel:DWORD dst_unused:UNUSED_PAD src0_sel:DWORD src1_sel:WORD_1
	v_fma_f16 v11, v3, v13, v5
	v_mul_f16_sdwa v3, v3, v13 dst_sel:DWORD dst_unused:UNUSED_PAD src0_sel:DWORD src1_sel:WORD_1
	v_fma_f16 v9, v9, v13, -v3
	global_load_dword v13, v75, s[12:13] offset:16
	v_lshrrev_b32_e32 v3, 16, v6
	s_waitcnt vmcnt(5)
	v_mul_f16_sdwa v5, v3, v14 dst_sel:DWORD dst_unused:UNUSED_PAD src0_sel:DWORD src1_sel:WORD_1
	v_fma_f16 v75, v6, v14, -v5
	v_mul_f16_sdwa v5, v6, v14 dst_sel:DWORD dst_unused:UNUSED_PAD src0_sel:DWORD src1_sel:WORD_1
	v_fma_f16 v14, v3, v14, v5
	v_lshrrev_b32_e32 v3, 16, v8
	v_mul_f16_sdwa v5, v3, v15 dst_sel:DWORD dst_unused:UNUSED_PAD src0_sel:DWORD src1_sel:WORD_1
	v_fma_f16 v104, v8, v15, -v5
	v_mul_f16_sdwa v5, v8, v15 dst_sel:DWORD dst_unused:UNUSED_PAD src0_sel:DWORD src1_sel:WORD_1
	v_fma_f16 v8, v3, v15, v5
	ds_read2st64_b32 v[5:6], v56 offset0:36 offset1:38
	v_lshrrev_b32_e32 v3, 16, v10
	v_mul_f16_sdwa v15, v3, v17 dst_sel:DWORD dst_unused:UNUSED_PAD src0_sel:DWORD src1_sel:WORD_1
	v_fma_f16 v15, v10, v17, -v15
	v_mul_f16_sdwa v10, v10, v17 dst_sel:DWORD dst_unused:UNUSED_PAD src0_sel:DWORD src1_sel:WORD_1
	v_fma_f16 v10, v3, v17, v10
	s_waitcnt lgkmcnt(0)
	v_lshrrev_b32_e32 v3, 16, v5
	v_mul_f16_sdwa v17, v5, v16 dst_sel:DWORD dst_unused:UNUSED_PAD src0_sel:DWORD src1_sel:WORD_1
	v_fma_f16 v17, v3, v16, v17
	v_mul_f16_sdwa v3, v3, v16 dst_sel:DWORD dst_unused:UNUSED_PAD src0_sel:DWORD src1_sel:WORD_1
	v_fma_f16 v16, v5, v16, -v3
	v_lshrrev_b32_e32 v3, 16, v4
	global_load_dword v93, v93, s[12:13] offset:16
	v_sub_f16_e32 v109, v89, v84
	s_mov_b32 s0, 0xbaee
	s_waitcnt vmcnt(2)
	v_mul_f16_sdwa v5, v3, v76 dst_sel:DWORD dst_unused:UNUSED_PAD src0_sel:DWORD src1_sel:WORD_1
	v_fma_f16 v105, v4, v76, -v5
	v_mul_f16_sdwa v4, v4, v76 dst_sel:DWORD dst_unused:UNUSED_PAD src0_sel:DWORD src1_sel:WORD_1
	v_fma_f16 v76, v3, v76, v4
	v_lshrrev_b32_e32 v3, 16, v50
	v_mul_f16_sdwa v4, v3, v77 dst_sel:DWORD dst_unused:UNUSED_PAD src0_sel:DWORD src1_sel:WORD_1
	v_fma_f16 v106, v50, v77, -v4
	v_mul_f16_sdwa v4, v50, v77 dst_sel:DWORD dst_unused:UNUSED_PAD src0_sel:DWORD src1_sel:WORD_1
	v_fma_f16 v50, v3, v77, v4
	ds_read2st64_b32 v[3:4], v56 offset0:48 offset1:50
	v_lshrrev_b32_e32 v5, 16, v6
	v_mul_f16_sdwa v77, v5, v78 dst_sel:DWORD dst_unused:UNUSED_PAD src0_sel:DWORD src1_sel:WORD_1
	v_fma_f16 v77, v6, v78, -v77
	v_mul_f16_sdwa v6, v6, v78 dst_sel:DWORD dst_unused:UNUSED_PAD src0_sel:DWORD src1_sel:WORD_1
	v_fma_f16 v78, v5, v78, v6
	s_waitcnt lgkmcnt(0)
	v_lshrrev_b32_e32 v5, 16, v3
	v_mul_f16_sdwa v6, v3, v79 dst_sel:DWORD dst_unused:UNUSED_PAD src0_sel:DWORD src1_sel:WORD_1
	v_fma_f16 v107, v5, v79, v6
	v_mul_f16_sdwa v5, v5, v79 dst_sel:DWORD dst_unused:UNUSED_PAD src0_sel:DWORD src1_sel:WORD_1
	v_fma_f16 v79, v3, v79, -v5
	v_lshrrev_b32_e32 v3, 16, v4
	v_mul_f16_sdwa v5, v3, v85 dst_sel:DWORD dst_unused:UNUSED_PAD src0_sel:DWORD src1_sel:WORD_1
	v_fma_f16 v5, v4, v85, -v5
	v_mul_f16_sdwa v4, v4, v85 dst_sel:DWORD dst_unused:UNUSED_PAD src0_sel:DWORD src1_sel:WORD_1
	v_fma_f16 v3, v3, v85, v4
	v_add_f16_e32 v4, v88, v80
	v_fma_f16 v85, v4, -0.5, v2
	v_lshrrev_b32_e32 v4, 16, v2
	v_add_f16_e32 v2, v2, v88
	v_add_f16_e32 v6, v4, v89
	;; [unrolled: 1-line block ×6, first 2 shown]
	v_sub_f16_e32 v80, v88, v80
	v_add_f16_e32 v88, v2, v3
	v_add_f16_e32 v2, v90, v3
	v_fma_f16 v87, v2, -0.5, v87
	v_add_f16_e32 v2, v51, v5
	v_sub_f16_e32 v110, v90, v3
	v_fma_f16 v90, v2, -0.5, v86
	v_add_f16_e32 v2, v86, v51
	v_sub_f16_e32 v51, v51, v5
	v_fma_f16 v3, v51, s0, v87
	v_fma_f16 v84, v6, -0.5, v4
	v_add_f16_e32 v86, v2, v5
	v_fma_f16 v2, v110, s1, v90
	v_mul_f16_e32 v4, 0x3aee, v3
	v_fma_f16 v111, v2, 0.5, v4
	v_mul_f16_e32 v2, 0xbaee, v2
	v_fma_f16 v112, v3, 0.5, v2
	v_mov_b32_e32 v2, 2
	v_mul_u32_u24_e32 v3, 0xf0, v70
	v_lshlrev_b32_sdwa v4, v2, v71 dst_sel:DWORD dst_unused:UNUSED_PAD src0_sel:DWORD src1_sel:BYTE_0
	v_add3_u32 v70, 0, v3, v4
	v_add_f16_e32 v3, v89, v86
	v_add_f16_e32 v4, v108, v88
	v_fma_f16 v113, v109, s1, v85
	v_fma_f16 v114, v80, s0, v84
	v_pack_b32_f16 v71, v3, v4
	v_add_f16_e32 v3, v113, v111
	v_add_f16_e32 v4, v114, v112
	v_pack_b32_f16 v115, v3, v4
	v_fma_f16 v80, v80, s1, v84
	v_fma_f16 v84, v110, s0, v90
	ds_read2st64_b32 v[3:4], v56 offset0:52 offset1:54
	ds_read2st64_b32 v[5:6], v56 offset0:56 offset1:58
	s_waitcnt vmcnt(0) lgkmcnt(0)
	s_barrier
	ds_write2_b32 v70, v71, v115 offset1:10
	v_fma_f16 v71, v109, s0, v85
	v_fma_f16 v51, v51, s1, v87
	v_mul_f16_e32 v85, -0.5, v84
	v_fma_f16 v85, v51, s1, v85
	v_mul_f16_e32 v51, -0.5, v51
	v_fma_f16 v51, v84, s0, v51
	v_sub_f16_e32 v84, v89, v86
	v_sub_f16_e32 v86, v108, v88
	v_add_f16_e32 v87, v71, v85
	v_add_f16_e32 v88, v80, v51
	v_pack_b32_f16 v87, v87, v88
	v_pack_b32_f16 v84, v84, v86
	ds_write2_b32 v70, v87, v84 offset0:20 offset1:30
	v_sub_f16_e32 v84, v113, v111
	v_sub_f16_e32 v71, v71, v85
	;; [unrolled: 1-line block ×4, first 2 shown]
	v_pack_b32_f16 v80, v84, v85
	v_pack_b32_f16 v51, v71, v51
	ds_write2_b32 v70, v80, v51 offset0:40 offset1:50
	v_lshrrev_b32_e32 v51, 16, v3
	v_mul_f16_sdwa v70, v3, v94 dst_sel:DWORD dst_unused:UNUSED_PAD src0_sel:DWORD src1_sel:WORD_1
	v_fma_f16 v70, v51, v94, v70
	v_mul_f16_sdwa v51, v51, v94 dst_sel:DWORD dst_unused:UNUSED_PAD src0_sel:DWORD src1_sel:WORD_1
	v_fma_f16 v3, v3, v94, -v51
	v_lshrrev_b32_e32 v51, 16, v83
	v_add_f16_e32 v85, v96, v100
	v_add_f16_e32 v71, v51, v98
	;; [unrolled: 1-line block ×3, first 2 shown]
	v_sub_f16_e32 v86, v100, v70
	v_add_f16_e32 v70, v100, v70
	v_add_f16_e32 v88, v97, v72
	;; [unrolled: 1-line block ×3, first 2 shown]
	v_sub_f16_e32 v80, v98, v81
	v_add_f16_e32 v81, v98, v81
	v_fma_f16 v70, v70, -0.5, v96
	v_add_f16_e32 v87, v72, v3
	v_add_f16_e32 v88, v88, v3
	v_sub_f16_e32 v3, v72, v3
	v_fma_f16 v51, v81, -0.5, v51
	v_add_f16_e32 v81, v99, v95
	v_fma_f16 v87, v87, -0.5, v97
	v_fma_f16 v89, v3, s0, v70
	v_fma_f16 v81, v81, -0.5, v83
	v_add_f16_e32 v83, v83, v99
	v_fma_f16 v72, v86, s1, v87
	v_mul_f16_e32 v90, 0x3aee, v89
	v_add_f16_e32 v83, v83, v95
	v_fma_f16 v90, v72, 0.5, v90
	v_mul_f16_e32 v72, 0xbaee, v72
	v_lshlrev_b32_sdwa v69, v2, v69 dst_sel:DWORD dst_unused:UNUSED_PAD src0_sel:DWORD src1_sel:BYTE_0
	v_sub_f16_e32 v84, v99, v95
	v_fma_f16 v72, v89, 0.5, v72
	v_add3_u32 v68, 0, v68, v69
	v_add_f16_e32 v69, v83, v88
	v_add_f16_e32 v89, v71, v85
	v_pack_b32_f16 v69, v69, v89
	v_fma_f16 v89, v80, s1, v81
	v_fma_f16 v94, v84, s0, v51
	v_add_f16_e32 v95, v89, v90
	v_add_f16_e32 v96, v94, v72
	v_pack_b32_f16 v95, v95, v96
	ds_write2_b32 v68, v69, v95 offset1:10
	v_fma_f16 v69, v80, s0, v81
	v_fma_f16 v80, v86, s0, v87
	;; [unrolled: 1-line block ×3, first 2 shown]
	v_mul_f16_e32 v70, -0.5, v80
	v_fma_f16 v70, v3, s1, v70
	v_mul_f16_e32 v3, -0.5, v3
	v_fma_f16 v51, v84, s1, v51
	v_fma_f16 v3, v80, s0, v3
	v_sub_f16_e32 v80, v83, v88
	v_sub_f16_e32 v71, v71, v85
	v_add_f16_e32 v81, v69, v70
	v_add_f16_e32 v83, v51, v3
	v_pack_b32_f16 v81, v81, v83
	v_pack_b32_f16 v71, v80, v71
	ds_write2_b32 v68, v81, v71 offset0:20 offset1:30
	v_sub_f16_e32 v71, v89, v90
	v_sub_f16_e32 v69, v69, v70
	;; [unrolled: 1-line block ×4, first 2 shown]
	v_pack_b32_f16 v51, v71, v70
	v_pack_b32_f16 v3, v69, v3
	ds_write2_b32 v68, v51, v3 offset0:40 offset1:50
	v_lshrrev_b32_e32 v3, 16, v4
	v_mul_f16_sdwa v51, v3, v74 dst_sel:DWORD dst_unused:UNUSED_PAD src0_sel:DWORD src1_sel:WORD_1
	v_fma_f16 v51, v4, v74, -v51
	v_mul_f16_sdwa v4, v4, v74 dst_sel:DWORD dst_unused:UNUSED_PAD src0_sel:DWORD src1_sel:WORD_1
	v_fma_f16 v3, v3, v74, v4
	v_lshrrev_b32_e32 v4, 16, v82
	v_add_f16_e32 v68, v4, v103
	v_add_f16_e32 v68, v68, v11
	v_sub_f16_e32 v69, v103, v11
	v_add_f16_e32 v11, v103, v11
	v_add_f16_e32 v70, v82, v7
	v_fma_f16 v4, v11, -0.5, v4
	v_add_f16_e32 v11, v7, v9
	v_add_f16_e32 v70, v70, v9
	v_sub_f16_e32 v7, v7, v9
	v_add_f16_e32 v9, v73, v12
	v_add_f16_e32 v9, v9, v3
	v_sub_f16_e32 v71, v12, v3
	v_add_f16_e32 v3, v12, v3
	v_add_f16_e32 v72, v102, v101
	v_fma_f16 v3, v3, -0.5, v73
	v_add_f16_e32 v12, v101, v51
	v_add_f16_e32 v72, v72, v51
	v_sub_f16_e32 v51, v101, v51
	v_fma_f16 v12, v12, -0.5, v102
	v_fma_f16 v74, v51, s0, v3
	v_fma_f16 v73, v71, s1, v12
	v_mul_f16_e32 v80, 0x3aee, v74
	v_fma_f16 v80, v73, 0.5, v80
	v_mul_f16_e32 v73, 0xbaee, v73
	v_fma_f16 v11, v11, -0.5, v82
	v_fma_f16 v73, v74, 0.5, v73
	v_add_f16_e32 v67, v70, v72
	v_add_f16_e32 v74, v68, v9
	v_fma_f16 v81, v7, s0, v4
	v_fma_f16 v4, v7, s1, v4
	;; [unrolled: 1-line block ×3, first 2 shown]
	v_pack_b32_f16 v67, v67, v74
	v_fma_f16 v74, v69, s1, v11
	v_fma_f16 v3, v51, s1, v3
	v_mul_f16_e32 v12, -0.5, v7
	v_add_f16_e32 v82, v74, v80
	v_add_f16_e32 v83, v81, v73
	v_fma_f16 v12, v3, s1, v12
	v_mul_f16_e32 v3, -0.5, v3
	v_pack_b32_f16 v82, v82, v83
	v_fma_f16 v11, v69, s0, v11
	v_fma_f16 v3, v7, s0, v3
	ds_write2_b32 v66, v67, v82 offset1:10
	v_sub_f16_e32 v7, v70, v72
	v_sub_f16_e32 v9, v68, v9
	v_add_f16_e32 v51, v11, v12
	v_add_f16_e32 v67, v4, v3
	v_pack_b32_f16 v51, v51, v67
	v_pack_b32_f16 v7, v7, v9
	ds_write2_b32 v66, v51, v7 offset0:20 offset1:30
	v_sub_f16_e32 v7, v74, v80
	v_sub_f16_e32 v9, v11, v12
	;; [unrolled: 1-line block ×4, first 2 shown]
	v_pack_b32_f16 v4, v7, v11
	v_pack_b32_f16 v3, v9, v3
	ds_write2_b32 v66, v4, v3 offset0:40 offset1:50
	v_lshrrev_b32_e32 v3, 16, v5
	v_mul_f16_sdwa v4, v5, v13 dst_sel:DWORD dst_unused:UNUSED_PAD src0_sel:DWORD src1_sel:WORD_1
	v_fma_f16 v4, v3, v13, v4
	v_mul_f16_sdwa v3, v3, v13 dst_sel:DWORD dst_unused:UNUSED_PAD src0_sel:DWORD src1_sel:WORD_1
	v_fma_f16 v3, v5, v13, -v3
	v_lshrrev_b32_e32 v5, 16, v6
	v_mul_f16_sdwa v7, v5, v93 dst_sel:DWORD dst_unused:UNUSED_PAD src0_sel:DWORD src1_sel:WORD_1
	v_fma_f16 v7, v6, v93, -v7
	v_mul_f16_sdwa v6, v6, v93 dst_sel:DWORD dst_unused:UNUSED_PAD src0_sel:DWORD src1_sel:WORD_1
	v_fma_f16 v5, v5, v93, v6
	v_lshrrev_b32_e32 v6, 16, v53
	v_add_f16_e32 v9, v6, v8
	v_add_f16_e32 v9, v9, v10
	v_sub_f16_e32 v11, v8, v10
	v_add_f16_e32 v8, v8, v10
	v_add_f16_e32 v10, v53, v104
	;; [unrolled: 1-line block ×3, first 2 shown]
	v_fma_f16 v6, v8, -0.5, v6
	v_add_f16_e32 v8, v104, v15
	v_add_f16_e32 v10, v10, v15
	v_sub_f16_e32 v12, v104, v15
	v_add_f16_e32 v13, v13, v4
	v_sub_f16_e32 v15, v17, v4
	v_add_f16_e32 v4, v17, v4
	v_add_f16_e32 v17, v75, v16
	v_fma_f16 v4, v4, -0.5, v14
	v_add_f16_e32 v14, v16, v3
	v_add_f16_e32 v17, v17, v3
	v_sub_f16_e32 v3, v16, v3
	v_fma_f16 v14, v14, -0.5, v75
	v_fma_f16 v51, v3, s0, v4
	v_fma_f16 v8, v8, -0.5, v53
	v_fma_f16 v16, v15, s1, v14
	v_mul_f16_e32 v53, 0x3aee, v51
	v_fma_f16 v53, v16, 0.5, v53
	v_mul_f16_e32 v16, 0xbaee, v16
	v_fma_f16 v16, v51, 0.5, v16
	v_mul_u32_u24_e32 v51, 0xf0, v54
	v_lshlrev_b32_e32 v54, 2, v55
	v_add3_u32 v51, 0, v51, v54
	v_add_f16_e32 v54, v10, v17
	v_add_f16_e32 v55, v9, v13
	v_pack_b32_f16 v54, v54, v55
	v_fma_f16 v55, v11, s1, v8
	v_fma_f16 v8, v11, s0, v8
	;; [unrolled: 1-line block ×4, first 2 shown]
	v_mul_f16_e32 v4, -0.5, v11
	v_fma_f16 v4, v3, s1, v4
	v_mul_f16_e32 v3, -0.5, v3
	v_fma_f16 v66, v12, s0, v6
	v_fma_f16 v6, v12, s1, v6
	;; [unrolled: 1-line block ×3, first 2 shown]
	v_sub_f16_e32 v10, v10, v17
	v_sub_f16_e32 v9, v9, v13
	v_add_f16_e32 v11, v8, v4
	v_add_f16_e32 v12, v6, v3
	v_sub_f16_e32 v3, v6, v3
	v_add_f16_e32 v6, v106, v79
	v_pack_b32_f16 v11, v11, v12
	v_pack_b32_f16 v9, v10, v9
	v_fma_f16 v6, v6, -0.5, v52
	v_sub_f16_e32 v10, v50, v107
	ds_write2_b32 v51, v11, v9 offset0:20 offset1:30
	v_fma_f16 v11, v10, s1, v6
	v_fma_f16 v6, v10, s0, v6
	v_lshrrev_b32_e32 v10, 16, v52
	v_add_f16_e32 v13, v50, v107
	v_add_f16_e32 v12, v10, v50
	v_fma_f16 v10, v13, -0.5, v10
	v_sub_f16_e32 v14, v106, v79
	v_fma_f16 v15, v14, s0, v10
	v_fma_f16 v10, v14, s1, v10
	v_add_f16_e32 v14, v77, v7
	v_add_f16_e32 v68, v66, v16
	v_sub_f16_e32 v4, v8, v4
	v_sub_f16_e32 v8, v66, v16
	v_fma_f16 v14, v14, -0.5, v105
	v_sub_f16_e32 v16, v78, v5
	v_fma_f16 v17, v16, s1, v14
	v_fma_f16 v14, v16, s0, v14
	v_add_f16_e32 v16, v76, v78
	v_add_f16_e32 v16, v16, v5
	;; [unrolled: 1-line block ×4, first 2 shown]
	v_fma_f16 v5, v5, -0.5, v76
	v_add_f16_e32 v50, v50, v7
	v_sub_f16_e32 v7, v77, v7
	v_add_f16_e32 v13, v52, v106
	v_fma_f16 v52, v7, s0, v5
	v_fma_f16 v5, v7, s1, v5
	v_mul_f16_e32 v7, 0x3aee, v52
	v_fma_f16 v7, v17, 0.5, v7
	v_mul_f16_e32 v17, 0xbaee, v17
	v_sub_f16_e32 v9, v55, v53
	v_fma_f16 v17, v52, 0.5, v17
	v_mul_f16_e32 v52, -0.5, v14
	v_add_f16_e32 v12, v12, v107
	v_add_f16_e32 v13, v13, v79
	v_fma_f16 v52, v5, s1, v52
	v_mul_f16_e32 v5, -0.5, v5
	v_pack_b32_f16 v8, v9, v8
	v_pack_b32_f16 v3, v4, v3
	v_add_f16_e32 v67, v55, v53
	v_fma_f16 v5, v14, s0, v5
	v_add_f16_e32 v14, v13, v50
	v_sub_f16_e32 v13, v13, v50
	v_add_f16_e32 v50, v11, v7
	v_sub_f16_e32 v7, v11, v7
	;; [unrolled: 2-line block ×4, first 2 shown]
	v_add_f16_e32 v16, v15, v17
	ds_write2_b32 v51, v8, v3 offset0:40 offset1:50
	v_mul_u32_u24_e32 v3, 0xf0, v91
	v_lshlrev_b32_e32 v4, 2, v92
	v_pack_b32_f16 v67, v67, v68
	v_sub_f16_e32 v15, v15, v17
	v_add_f16_e32 v17, v10, v5
	v_add3_u32 v3, 0, v3, v4
	v_pack_b32_f16 v4, v14, v52
	v_pack_b32_f16 v8, v50, v16
	s_mov_b32 s0, 0x8889
	ds_write2_b32 v51, v54, v67 offset1:10
	v_sub_f16_e32 v5, v10, v5
	ds_write2_b32 v3, v4, v8 offset1:10
	v_pack_b32_f16 v4, v11, v17
	v_pack_b32_f16 v8, v13, v12
	v_mul_u32_u24_sdwa v12, v38, s0 dst_sel:DWORD dst_unused:UNUSED_PAD src0_sel:WORD_0 src1_sel:DWORD
	ds_write2_b32 v3, v4, v8 offset0:20 offset1:30
	v_pack_b32_f16 v4, v7, v15
	v_pack_b32_f16 v5, v6, v5
	v_lshrrev_b32_e32 v52, 21, v12
	ds_write2_b32 v3, v4, v5 offset0:40 offset1:50
	v_mul_lo_u16_e32 v3, 60, v52
	v_mul_u32_u24_sdwa v14, v28, s0 dst_sel:DWORD dst_unused:UNUSED_PAD src0_sel:WORD_0 src1_sel:DWORD
	v_sub_u16_e32 v3, v38, v3
	v_lshrrev_b32_e32 v75, 21, v14
	v_lshlrev_b32_e32 v74, 2, v3
	v_mul_lo_u16_e32 v3, 60, v75
	v_mul_u32_u24_sdwa v11, v30, s0 dst_sel:DWORD dst_unused:UNUSED_PAD src0_sel:WORD_0 src1_sel:DWORD
	v_sub_u16_e32 v3, v28, v3
	v_lshrrev_b32_e32 v77, 21, v11
	v_lshlrev_b32_e32 v76, 2, v3
	;; [unrolled: 5-line block ×3, first 2 shown]
	v_mul_lo_u16_e32 v3, 60, v79
	s_movk_i32 s1, 0x89
	v_sub_u16_e32 v3, v26, v3
	v_lshlrev_b32_e32 v80, 2, v3
	v_mul_lo_u16_sdwa v3, v0, s1 dst_sel:DWORD dst_unused:UNUSED_PAD src0_sel:BYTE_0 src1_sel:DWORD
	v_mul_u32_u24_sdwa v13, v40, s0 dst_sel:DWORD dst_unused:UNUSED_PAD src0_sel:WORD_0 src1_sel:DWORD
	v_lshrrev_b16_e32 v17, 13, v3
	v_lshrrev_b32_e32 v53, 21, v13
	v_mul_lo_u16_e32 v3, 60, v17
	v_mul_u32_u24_sdwa v54, v34, s0 dst_sel:DWORD dst_unused:UNUSED_PAD src0_sel:WORD_0 src1_sel:DWORD
	v_mul_lo_u16_e32 v4, 60, v53
	v_sub_u16_e32 v3, v0, v3
	v_lshrrev_b32_e32 v81, 21, v54
	v_sub_u16_e32 v4, v40, v4
	v_lshlrev_b32_sdwa v66, v2, v3 dst_sel:DWORD dst_unused:UNUSED_PAD src0_sel:DWORD src1_sel:BYTE_0
	v_mul_lo_u16_e32 v3, 60, v81
	v_mul_u32_u24_sdwa v55, v32, s0 dst_sel:DWORD dst_unused:UNUSED_PAD src0_sel:WORD_0 src1_sel:DWORD
	s_waitcnt lgkmcnt(0)
	s_barrier
	v_lshlrev_b32_e32 v73, 2, v4
	global_load_dword v67, v66, s[12:13] offset:200
	global_load_dword v68, v73, s[12:13] offset:200
	;; [unrolled: 1-line block ×6, first 2 shown]
	v_sub_u16_e32 v3, v34, v3
	v_lshrrev_b32_e32 v83, 21, v55
	v_lshlrev_b32_e32 v82, 2, v3
	v_mul_lo_u16_e32 v3, 60, v83
	v_mul_u32_u24_sdwa v15, v36, s0 dst_sel:DWORD dst_unused:UNUSED_PAD src0_sel:WORD_0 src1_sel:DWORD
	v_sub_u16_e32 v3, v32, v3
	v_lshrrev_b32_e32 v85, 21, v15
	v_lshlrev_b32_e32 v84, 2, v3
	v_mul_lo_u16_e32 v3, 60, v85
	v_mul_u32_u24_sdwa v5, v44, s0 dst_sel:DWORD dst_unused:UNUSED_PAD src0_sel:WORD_0 src1_sel:DWORD
	v_sub_u16_e32 v3, v36, v3
	v_lshrrev_b32_e32 v87, 21, v5
	global_load_dword v91, v82, s[12:13] offset:200
	global_load_dword v93, v84, s[12:13] offset:200
	v_lshlrev_b32_e32 v86, 2, v3
	global_load_dword v95, v86, s[12:13] offset:200
	v_mul_lo_u16_e32 v3, 60, v87
	v_mul_u32_u24_sdwa v6, v42, s0 dst_sel:DWORD dst_unused:UNUSED_PAD src0_sel:WORD_0 src1_sel:DWORD
	v_sub_u16_e32 v3, v44, v3
	v_lshrrev_b32_e32 v89, 21, v6
	v_lshlrev_b32_e32 v88, 2, v3
	global_load_dword v97, v88, s[12:13] offset:200
	v_mul_lo_u16_e32 v3, 60, v89
	v_mul_u32_u24_sdwa v7, v46, s0 dst_sel:DWORD dst_unused:UNUSED_PAD src0_sel:WORD_0 src1_sel:DWORD
	v_sub_u16_e32 v3, v42, v3
	v_lshrrev_b32_e32 v92, 21, v7
	;; [unrolled: 6-line block ×3, first 2 shown]
	v_lshlrev_b32_e32 v94, 2, v3
	global_load_dword v101, v94, s[12:13] offset:200
	v_mul_lo_u16_e32 v3, 60, v96
	v_sub_u16_e32 v3, v48, v3
	v_lshlrev_b32_e32 v98, 2, v3
	v_mul_u32_u24_sdwa v3, v22, s0 dst_sel:DWORD dst_unused:UNUSED_PAD src0_sel:WORD_0 src1_sel:DWORD
	v_lshrrev_b32_e32 v100, 21, v3
	v_mul_lo_u16_e32 v4, 60, v100
	v_sub_u16_e32 v4, v22, v4
	v_lshlrev_b32_e32 v102, 2, v4
	global_load_dword v103, v98, s[12:13] offset:200
	global_load_dword v104, v102, s[12:13] offset:200
	v_mul_lo_u16_sdwa v4, v24, s1 dst_sel:DWORD dst_unused:UNUSED_PAD src0_sel:BYTE_0 src1_sel:DWORD
	v_lshrrev_b16_e32 v105, 13, v4
	v_mul_lo_u16_e32 v9, 60, v105
	v_sub_u16_e32 v9, v24, v9
	v_lshlrev_b32_sdwa v106, v2, v9 dst_sel:DWORD dst_unused:UNUSED_PAD src0_sel:DWORD src1_sel:BYTE_0
	global_load_dword v107, v106, s[12:13] offset:200
	ds_read2st64_b32 v[9:10], v56 offset0:56 offset1:58
	ds_read2st64_b32 v[50:51], v56 offset0:52 offset1:54
	v_mul_u32_u24_e32 v17, 0x1e0, v17
	ds_read_b32 v126, v60
	s_movk_i32 s0, 0x78
	v_cmp_gt_u32_e64 s[0:1], s0, v0
	s_waitcnt vmcnt(13) lgkmcnt(2)
	v_pk_mul_f16 v108, v10, v68 op_sel:[0,1]
	v_pk_fma_f16 v109, v10, v68, v108 op_sel:[0,0,1] op_sel_hi:[1,1,0] neg_lo:[0,0,1] neg_hi:[0,0,1]
	v_pk_fma_f16 v108, v10, v68, v108 op_sel:[0,0,1] op_sel_hi:[1,0,0]
	s_waitcnt vmcnt(12)
	v_pk_mul_f16 v10, v9, v69 op_sel:[0,1]
	v_pk_fma_f16 v110, v9, v69, v10 op_sel:[0,0,1] op_sel_hi:[1,1,0] neg_lo:[0,0,1] neg_hi:[0,0,1]
	v_pk_fma_f16 v111, v9, v69, v10 op_sel:[0,0,1] op_sel_hi:[1,0,0]
	ds_read2st64_b32 v[9:10], v56 offset0:48 offset1:50
	s_waitcnt vmcnt(11) lgkmcnt(2)
	v_pk_mul_f16 v68, v51, v70 op_sel:[0,1]
	v_pk_fma_f16 v112, v51, v70, v68 op_sel:[0,0,1] op_sel_hi:[1,1,0] neg_lo:[0,0,1] neg_hi:[0,0,1]
	v_pk_fma_f16 v113, v51, v70, v68 op_sel:[0,0,1] op_sel_hi:[1,0,0]
	s_waitcnt vmcnt(10)
	v_pk_mul_f16 v51, v50, v71 op_sel:[0,1]
	v_pk_fma_f16 v114, v50, v71, v51 op_sel:[0,0,1] op_sel_hi:[1,1,0] neg_lo:[0,0,1] neg_hi:[0,0,1]
	v_pk_fma_f16 v115, v50, v71, v51 op_sel:[0,0,1] op_sel_hi:[1,0,0]
	s_waitcnt vmcnt(9) lgkmcnt(0)
	v_pk_mul_f16 v68, v10, v72 op_sel:[0,1]
	ds_read2st64_b32 v[50:51], v56 offset0:44 offset1:46
	v_pk_fma_f16 v116, v10, v72, v68 op_sel:[0,0,1] op_sel_hi:[1,1,0] neg_lo:[0,0,1] neg_hi:[0,0,1]
	v_pk_fma_f16 v117, v10, v72, v68 op_sel:[0,0,1] op_sel_hi:[1,0,0]
	s_waitcnt vmcnt(8)
	v_pk_mul_f16 v10, v9, v91 op_sel:[0,1]
	v_pk_fma_f16 v118, v9, v91, v10 op_sel:[0,0,1] op_sel_hi:[1,1,0] neg_lo:[0,0,1] neg_hi:[0,0,1]
	v_pk_fma_f16 v91, v9, v91, v10 op_sel:[0,0,1] op_sel_hi:[1,0,0]
	ds_read2st64_b32 v[9:10], v56 offset0:40 offset1:42
	s_waitcnt vmcnt(7) lgkmcnt(1)
	v_pk_mul_f16 v68, v51, v93 op_sel:[0,1]
	v_pk_fma_f16 v119, v51, v93, v68 op_sel:[0,0,1] op_sel_hi:[1,1,0] neg_lo:[0,0,1] neg_hi:[0,0,1]
	v_pk_fma_f16 v93, v51, v93, v68 op_sel:[0,0,1] op_sel_hi:[1,0,0]
	s_waitcnt vmcnt(6)
	v_pk_mul_f16 v51, v50, v95 op_sel:[0,1]
	v_pk_fma_f16 v120, v50, v95, v51 op_sel:[0,0,1] op_sel_hi:[1,1,0] neg_lo:[0,0,1] neg_hi:[0,0,1]
	v_pk_fma_f16 v95, v50, v95, v51 op_sel:[0,0,1] op_sel_hi:[1,0,0]
	s_waitcnt vmcnt(5) lgkmcnt(0)
	v_pk_mul_f16 v68, v10, v97 op_sel:[0,1]
	ds_read2st64_b32 v[50:51], v56 offset0:36 offset1:38
	v_pk_fma_f16 v121, v10, v97, v68 op_sel:[0,0,1] op_sel_hi:[1,1,0] neg_lo:[0,0,1] neg_hi:[0,0,1]
	v_pk_fma_f16 v97, v10, v97, v68 op_sel:[0,0,1] op_sel_hi:[1,0,0]
	v_lshl_add_u32 v72, v44, 2, 0
	s_waitcnt vmcnt(4)
	v_pk_mul_f16 v10, v9, v99 op_sel:[0,1]
	v_pk_fma_f16 v122, v9, v99, v10 op_sel:[0,0,1] op_sel_hi:[1,1,0] neg_lo:[0,0,1] neg_hi:[0,0,1]
	v_pk_fma_f16 v99, v9, v99, v10 op_sel:[0,0,1] op_sel_hi:[1,0,0]
	ds_read2st64_b32 v[9:10], v56 offset0:32 offset1:34
	v_lshl_add_u32 v71, v36, 2, 0
	v_lshl_add_u32 v70, v32, 2, 0
	s_waitcnt vmcnt(3) lgkmcnt(1)
	v_pk_mul_f16 v68, v51, v101 op_sel:[0,1]
	v_pk_fma_f16 v123, v51, v101, v68 op_sel:[0,0,1] op_sel_hi:[1,1,0] neg_lo:[0,0,1] neg_hi:[0,0,1]
	v_pk_fma_f16 v101, v51, v101, v68 op_sel:[0,0,1] op_sel_hi:[1,0,0]
	v_lshl_add_u32 v69, v34, 2, 0
	s_waitcnt vmcnt(2)
	v_pk_mul_f16 v51, v50, v103 op_sel:[0,1]
	v_pk_fma_f16 v124, v50, v103, v51 op_sel:[0,0,1] op_sel_hi:[1,1,0] neg_lo:[0,0,1] neg_hi:[0,0,1]
	v_pk_fma_f16 v103, v50, v103, v51 op_sel:[0,0,1] op_sel_hi:[1,0,0]
	s_waitcnt vmcnt(1) lgkmcnt(0)
	v_pk_mul_f16 v50, v10, v104 op_sel:[0,1]
	v_pk_fma_f16 v125, v10, v104, v50 op_sel:[0,0,1] op_sel_hi:[1,1,0] neg_lo:[0,0,1] neg_hi:[0,0,1]
	v_pk_fma_f16 v10, v10, v104, v50 op_sel:[0,0,1] op_sel_hi:[1,0,0]
	ds_read2st64_b32 v[50:51], v56 offset1:30
	s_waitcnt vmcnt(0)
	v_pk_mul_f16 v68, v107, v9 op_sel:[0,1]
	v_pk_fma_f16 v104, v107, v9, v68 op_sel:[0,0,1] op_sel_hi:[1,1,0] neg_lo:[0,0,1] neg_hi:[0,0,1]
	v_pk_fma_f16 v9, v107, v9, v68 op_sel:[0,0,1] op_sel_hi:[1,0,0]
	v_add3_u32 v107, 0, v17, v66
	s_waitcnt lgkmcnt(0)
	v_pk_mul_f16 v17, v67, v51 op_sel:[0,1]
	v_pk_fma_f16 v66, v67, v51, v17 op_sel:[0,0,1] op_sel_hi:[1,1,0] neg_lo:[0,0,1] neg_hi:[0,0,1]
	v_pk_fma_f16 v17, v67, v51, v17 op_sel:[0,0,1] op_sel_hi:[1,0,0]
	v_bfi_b32 v17, s4, v66, v17
	v_lshl_add_u32 v68, v30, 2, 0
	v_pk_add_f16 v51, v50, v17 neg_lo:[0,1] neg_hi:[0,1]
	ds_read_b32 v127, v72
	ds_read_b32 v128, v71
	;; [unrolled: 1-line block ×7, first 2 shown]
	v_lshl_add_u32 v67, v28, 2, 0
	v_lshl_add_u32 v66, v38, 2, 0
	ds_read_b32 v134, v68
	ds_read_b32 v135, v67
	;; [unrolled: 1-line block ×3, first 2 shown]
	v_lshl_add_u32 v17, v40, 2, 0
	ds_read_b32 v137, v64
	ds_read_b32 v138, v65
	;; [unrolled: 1-line block ×3, first 2 shown]
	v_pk_fma_f16 v50, v50, 2.0, v51 op_sel_hi:[1,0,1] neg_lo:[0,0,1] neg_hi:[0,0,1]
	v_bfi_b32 v9, s4, v104, v9
	s_waitcnt lgkmcnt(0)
	s_barrier
	ds_write2_b32 v107, v50, v51 offset1:60
	v_mul_u32_u24_e32 v50, 0x1e0, v105
	v_pk_add_f16 v9, v138, v9 neg_lo:[0,1] neg_hi:[0,1]
	v_add3_u32 v50, 0, v50, v106
	v_pk_fma_f16 v51, v138, 2.0, v9 op_sel_hi:[1,0,1] neg_lo:[0,0,1] neg_hi:[0,0,1]
	v_bfi_b32 v10, s4, v125, v10
	ds_write2_b32 v50, v51, v9 offset1:60
	v_mul_u32_u24_e32 v9, 0x1e0, v100
	v_pk_add_f16 v10, v137, v10 neg_lo:[0,1] neg_hi:[0,1]
	v_add3_u32 v9, 0, v9, v102
	v_pk_fma_f16 v50, v137, 2.0, v10 op_sel_hi:[1,0,1] neg_lo:[0,0,1] neg_hi:[0,0,1]
	ds_write2_b32 v9, v50, v10 offset1:60
	v_bfi_b32 v10, s4, v124, v103
	v_mul_u32_u24_e32 v9, 0x1e0, v96
	v_pk_add_f16 v10, v132, v10 neg_lo:[0,1] neg_hi:[0,1]
	v_add3_u32 v9, 0, v9, v98
	v_pk_fma_f16 v50, v132, 2.0, v10 op_sel_hi:[1,0,1] neg_lo:[0,0,1] neg_hi:[0,0,1]
	ds_write2_b32 v9, v50, v10 offset1:60
	v_bfi_b32 v10, s4, v123, v101
	;; [unrolled: 6-line block ×12, first 2 shown]
	v_mul_u32_u24_e32 v9, 0x1e0, v53
	v_pk_add_f16 v10, v139, v10 neg_lo:[0,1] neg_hi:[0,1]
	v_add3_u32 v9, 0, v9, v73
	v_pk_fma_f16 v50, v139, 2.0, v10 op_sel_hi:[1,0,1] neg_lo:[0,0,1] neg_hi:[0,0,1]
	v_lshrrev_b32_e32 v52, 22, v13
	ds_write2_b32 v9, v50, v10 offset1:60
	v_mul_lo_u16_e32 v9, 0x78, v52
	v_sub_u16_e32 v9, v40, v9
	v_lshrrev_b32_e32 v74, 22, v12
	v_lshlrev_b32_e32 v53, 2, v9
	v_mul_lo_u16_e32 v9, 0x78, v74
	v_sub_u16_e32 v9, v38, v9
	v_lshrrev_b32_e32 v76, 22, v14
	v_lshlrev_b32_e32 v75, 2, v9
	;; [unrolled: 4-line block ×3, first 2 shown]
	v_mul_lo_u16_e32 v9, 0x78, v78
	v_lshrrev_b16_e32 v82, 14, v4
	v_sub_u16_e32 v9, v30, v9
	v_lshrrev_b32_e32 v80, 22, v16
	v_mul_lo_u16_e32 v4, 0x78, v82
	v_lshlrev_b32_e32 v79, 2, v9
	v_mul_lo_u16_e32 v9, 0x78, v80
	v_sub_u16_e32 v4, v24, v4
	v_sub_u16_e32 v9, v26, v9
	v_lshlrev_b32_sdwa v2, v2, v4 dst_sel:DWORD dst_unused:UNUSED_PAD src0_sel:DWORD src1_sel:BYTE_0
	v_lshrrev_b32_e32 v89, 22, v54
	s_waitcnt lgkmcnt(0)
	s_barrier
	v_lshlrev_b32_e32 v81, 2, v9
	global_load_dword v83, v2, s[12:13] offset:440
	global_load_dword v84, v53, s[12:13] offset:440
	;; [unrolled: 1-line block ×6, first 2 shown]
	v_mul_lo_u16_e32 v4, 0x78, v89
	v_sub_u16_e32 v4, v34, v4
	v_lshrrev_b32_e32 v91, 22, v55
	v_lshlrev_b32_e32 v90, 2, v4
	v_mul_lo_u16_e32 v4, 0x78, v91
	v_sub_u16_e32 v4, v32, v4
	v_lshrrev_b32_e32 v93, 22, v15
	v_lshlrev_b32_e32 v92, 2, v4
	v_mul_lo_u16_e32 v4, 0x78, v93
	global_load_dword v96, v90, s[12:13] offset:440
	global_load_dword v99, v92, s[12:13] offset:440
	v_sub_u16_e32 v4, v36, v4
	v_lshrrev_b32_e32 v95, 22, v5
	v_lshlrev_b32_e32 v94, 2, v4
	global_load_dword v101, v94, s[12:13] offset:440
	v_mul_lo_u16_e32 v4, 0x78, v95
	v_sub_u16_e32 v4, v44, v4
	v_lshrrev_b32_e32 v98, 22, v6
	v_lshlrev_b32_e32 v97, 2, v4
	global_load_dword v103, v97, s[12:13] offset:440
	v_mul_lo_u16_e32 v4, 0x78, v98
	v_sub_u16_e32 v4, v42, v4
	v_lshlrev_b32_e32 v100, 2, v4
	global_load_dword v106, v100, s[12:13] offset:440
	v_lshrrev_b32_e32 v102, 22, v7
	v_mul_lo_u16_e32 v4, 0x78, v102
	v_sub_u16_e32 v4, v46, v4
	v_lshrrev_b32_e32 v105, 22, v8
	v_lshlrev_b32_e32 v104, 2, v4
	global_load_dword v107, v104, s[12:13] offset:440
	v_mul_lo_u16_e32 v4, 0x78, v105
	v_lshrrev_b32_e32 v110, 22, v3
	v_sub_u16_e32 v4, v48, v4
	v_mul_lo_u16_e32 v3, 0x78, v110
	v_lshlrev_b32_e32 v108, 2, v4
	global_load_dword v109, v108, s[12:13] offset:440
	v_sub_u16_e32 v3, v22, v3
	v_lshlrev_b32_e32 v111, 2, v3
	global_load_dword v112, v111, s[12:13] offset:440
	v_add_u32_e32 v3, 0xffffff88, v0
	v_cndmask_b32_e64 v3, v3, v0, s[0:1]
	v_mov_b32_e32 v4, 0
	v_lshlrev_b64 v[9:10], 2, v[3:4]
	v_mov_b32_e32 v73, s13
	v_add_co_u32_e64 v9, s[0:1], s12, v9
	v_addc_co_u32_e64 v10, s[0:1], v73, v10, s[0:1]
	global_load_dword v113, v[9:10], off offset:440
	ds_read2st64_b32 v[9:10], v56 offset0:56 offset1:58
	ds_read2st64_b32 v[50:51], v56 offset0:52 offset1:54
	s_movk_i32 s0, 0x77
	v_mov_b32_e32 v126, 0x3c0
	v_cmp_lt_u32_e64 s[0:1], s0, v0
	v_cndmask_b32_e64 v126, 0, v126, s[0:1]
	v_lshlrev_b32_e32 v3, 2, v3
	v_add3_u32 v3, 0, v126, v3
	v_lshrrev_b32_e32 v7, 23, v7
	v_mul_lo_u16_e32 v7, 0xf0, v7
	v_sub_u16_e32 v7, v46, v7
	v_lshrrev_b32_e32 v5, 23, v5
	v_mul_lo_u16_e32 v5, 0xf0, v5
	v_sub_u16_e32 v5, v44, v5
	s_waitcnt vmcnt(13) lgkmcnt(1)
	v_pk_mul_f16 v114, v10, v84 op_sel:[0,1]
	v_pk_fma_f16 v115, v10, v84, v114 op_sel:[0,0,1] op_sel_hi:[1,1,0] neg_lo:[0,0,1] neg_hi:[0,0,1]
	v_pk_fma_f16 v84, v10, v84, v114 op_sel:[0,0,1] op_sel_hi:[1,0,0]
	s_waitcnt vmcnt(12)
	v_pk_mul_f16 v10, v9, v85 op_sel:[0,1]
	v_pk_fma_f16 v114, v9, v85, v10 op_sel:[0,0,1] op_sel_hi:[1,1,0] neg_lo:[0,0,1] neg_hi:[0,0,1]
	v_pk_fma_f16 v85, v9, v85, v10 op_sel:[0,0,1] op_sel_hi:[1,0,0]
	ds_read2st64_b32 v[9:10], v56 offset0:48 offset1:50
	s_waitcnt vmcnt(11) lgkmcnt(1)
	v_pk_mul_f16 v116, v51, v86 op_sel:[0,1]
	v_pk_fma_f16 v117, v51, v86, v116 op_sel:[0,0,1] op_sel_hi:[1,1,0] neg_lo:[0,0,1] neg_hi:[0,0,1]
	v_pk_fma_f16 v86, v51, v86, v116 op_sel:[0,0,1] op_sel_hi:[1,0,0]
	s_waitcnt vmcnt(10)
	v_pk_mul_f16 v51, v50, v87 op_sel:[0,1]
	v_pk_fma_f16 v116, v50, v87, v51 op_sel:[0,0,1] op_sel_hi:[1,1,0] neg_lo:[0,0,1] neg_hi:[0,0,1]
	v_pk_fma_f16 v87, v50, v87, v51 op_sel:[0,0,1] op_sel_hi:[1,0,0]
	s_waitcnt vmcnt(9) lgkmcnt(0)
	v_pk_mul_f16 v118, v10, v88 op_sel:[0,1]
	ds_read2st64_b32 v[50:51], v56 offset0:44 offset1:46
	v_pk_fma_f16 v119, v10, v88, v118 op_sel:[0,0,1] op_sel_hi:[1,1,0] neg_lo:[0,0,1] neg_hi:[0,0,1]
	v_pk_fma_f16 v88, v10, v88, v118 op_sel:[0,0,1] op_sel_hi:[1,0,0]
	s_waitcnt vmcnt(8)
	v_pk_mul_f16 v10, v9, v96 op_sel:[0,1]
	v_pk_fma_f16 v118, v9, v96, v10 op_sel:[0,0,1] op_sel_hi:[1,1,0] neg_lo:[0,0,1] neg_hi:[0,0,1]
	v_pk_fma_f16 v96, v9, v96, v10 op_sel:[0,0,1] op_sel_hi:[1,0,0]
	ds_read2st64_b32 v[9:10], v56 offset0:40 offset1:42
	s_waitcnt vmcnt(7) lgkmcnt(1)
	v_pk_mul_f16 v120, v51, v99 op_sel:[0,1]
	v_pk_fma_f16 v121, v51, v99, v120 op_sel:[0,0,1] op_sel_hi:[1,1,0] neg_lo:[0,0,1] neg_hi:[0,0,1]
	v_pk_fma_f16 v99, v51, v99, v120 op_sel:[0,0,1] op_sel_hi:[1,0,0]
	s_waitcnt vmcnt(6)
	v_pk_mul_f16 v51, v50, v101 op_sel:[0,1]
	v_pk_fma_f16 v120, v50, v101, v51 op_sel:[0,0,1] op_sel_hi:[1,1,0] neg_lo:[0,0,1] neg_hi:[0,0,1]
	v_pk_fma_f16 v101, v50, v101, v51 op_sel:[0,0,1] op_sel_hi:[1,0,0]
	s_waitcnt vmcnt(5) lgkmcnt(0)
	v_pk_mul_f16 v122, v10, v103 op_sel:[0,1]
	ds_read2st64_b32 v[50:51], v56 offset0:36 offset1:38
	v_pk_fma_f16 v123, v10, v103, v122 op_sel:[0,0,1] op_sel_hi:[1,1,0] neg_lo:[0,0,1] neg_hi:[0,0,1]
	v_pk_fma_f16 v103, v10, v103, v122 op_sel:[0,0,1] op_sel_hi:[1,0,0]
	s_waitcnt vmcnt(4)
	v_pk_mul_f16 v10, v9, v106 op_sel:[0,1]
	v_pk_fma_f16 v122, v9, v106, v10 op_sel:[0,0,1] op_sel_hi:[1,1,0] neg_lo:[0,0,1] neg_hi:[0,0,1]
	v_pk_fma_f16 v106, v9, v106, v10 op_sel:[0,0,1] op_sel_hi:[1,0,0]
	ds_read2st64_b32 v[9:10], v56 offset0:32 offset1:34
	s_waitcnt vmcnt(3) lgkmcnt(1)
	v_pk_mul_f16 v124, v51, v107 op_sel:[0,1]
	v_pk_fma_f16 v125, v51, v107, v124 op_sel:[0,0,1] op_sel_hi:[1,1,0] neg_lo:[0,0,1] neg_hi:[0,0,1]
	v_pk_fma_f16 v51, v51, v107, v124 op_sel:[0,0,1] op_sel_hi:[1,0,0]
	s_waitcnt vmcnt(2)
	v_pk_mul_f16 v107, v50, v109 op_sel:[0,1]
	v_pk_fma_f16 v124, v50, v109, v107 op_sel:[0,0,1] op_sel_hi:[1,1,0] neg_lo:[0,0,1] neg_hi:[0,0,1]
	v_pk_fma_f16 v50, v50, v109, v107 op_sel:[0,0,1] op_sel_hi:[1,0,0]
	s_waitcnt vmcnt(1) lgkmcnt(0)
	v_pk_mul_f16 v107, v112, v10 op_sel:[0,1]
	v_pk_fma_f16 v109, v112, v10, v107 op_sel:[0,0,1] op_sel_hi:[1,1,0] neg_lo:[0,0,1] neg_hi:[0,0,1]
	v_pk_fma_f16 v107, v112, v10, v107 op_sel:[0,0,1] op_sel_hi:[1,0,0]
	v_pk_mul_f16 v10, v83, v9 op_sel:[0,1]
	v_pk_fma_f16 v112, v83, v9, v10 op_sel:[0,0,1] op_sel_hi:[1,1,0] neg_lo:[0,0,1] neg_hi:[0,0,1]
	v_pk_fma_f16 v83, v83, v9, v10 op_sel:[0,0,1] op_sel_hi:[1,0,0]
	ds_read2st64_b32 v[9:10], v56 offset1:30
	s_waitcnt vmcnt(0) lgkmcnt(0)
	v_pk_mul_f16 v126, v113, v10 op_sel:[0,1]
	v_pk_fma_f16 v127, v113, v10, v126 op_sel:[0,0,1] op_sel_hi:[1,1,0] neg_lo:[0,0,1] neg_hi:[0,0,1]
	v_pk_fma_f16 v10, v113, v10, v126 op_sel:[0,0,1] op_sel_hi:[1,0,0]
	v_bfi_b32 v10, s4, v127, v10
	v_pk_add_f16 v10, v9, v10 neg_lo:[0,1] neg_hi:[0,1]
	ds_read_b32 v113, v60
	ds_read_b32 v126, v72
	;; [unrolled: 1-line block ×14, first 2 shown]
	v_pk_fma_f16 v9, v9, 2.0, v10 op_sel_hi:[1,0,1] neg_lo:[0,0,1] neg_hi:[0,0,1]
	s_waitcnt lgkmcnt(0)
	s_barrier
	ds_write2_b32 v3, v9, v10 offset1:120
	v_mul_u32_u24_e32 v3, 0x3c0, v82
	v_add3_u32 v2, 0, v3, v2
	v_bfi_b32 v3, s4, v112, v83
	v_pk_add_f16 v3, v137, v3 neg_lo:[0,1] neg_hi:[0,1]
	v_pk_fma_f16 v9, v137, 2.0, v3 op_sel_hi:[1,0,1] neg_lo:[0,0,1] neg_hi:[0,0,1]
	ds_write2_b32 v2, v9, v3 offset1:120
	v_bfi_b32 v3, s4, v109, v107
	v_mul_u32_u24_e32 v2, 0x3c0, v110
	v_pk_add_f16 v3, v136, v3 neg_lo:[0,1] neg_hi:[0,1]
	v_add3_u32 v2, 0, v2, v111
	v_pk_fma_f16 v9, v136, 2.0, v3 op_sel_hi:[1,0,1] neg_lo:[0,0,1] neg_hi:[0,0,1]
	ds_write2_b32 v2, v9, v3 offset1:120
	v_bfi_b32 v3, s4, v124, v50
	v_mul_u32_u24_e32 v2, 0x3c0, v105
	v_pk_add_f16 v3, v131, v3 neg_lo:[0,1] neg_hi:[0,1]
	v_add3_u32 v2, 0, v2, v108
	;; [unrolled: 6-line block ×13, first 2 shown]
	v_pk_fma_f16 v9, v138, 2.0, v3 op_sel_hi:[1,0,1] neg_lo:[0,0,1] neg_hi:[0,0,1]
	ds_write2_b32 v2, v9, v3 offset1:120
	v_lshlrev_b64 v[1:2], 2, v[0:1]
	s_waitcnt lgkmcnt(0)
	v_add_co_u32_e64 v9, s[0:1], s12, v1
	v_addc_co_u32_e64 v10, s[0:1], v73, v2, s[0:1]
	s_barrier
	global_load_dword v52, v[9:10], off offset:920
	s_movk_i32 s0, 0xf0
	v_add_u32_e32 v3, 0xffffff90, v0
	v_cmp_gt_u32_e64 s[0:1], s0, v24
	v_cndmask_b32_e64 v3, v3, v24, s[0:1]
	v_lshlrev_b64 v[50:51], 2, v[3:4]
	v_lshrrev_b32_e32 v80, 23, v8
	v_add_co_u32_e64 v50, s[0:1], s12, v50
	v_addc_co_u32_e64 v51, s[0:1], v73, v51, s[0:1]
	global_load_dword v88, v[50:51], off offset:920
	v_mul_lo_u16_e32 v8, 0xf0, v80
	v_lshrrev_b32_e32 v83, 23, v6
	v_lshrrev_b32_e32 v86, 23, v15
	v_sub_u16_e32 v8, v48, v8
	v_lshlrev_b32_e32 v82, 2, v7
	v_mul_lo_u16_e32 v6, 0xf0, v83
	v_mul_lo_u16_e32 v7, 0xf0, v86
	v_lshlrev_b32_e32 v81, 2, v8
	v_sub_u16_e32 v6, v42, v6
	v_sub_u16_e32 v7, v36, v7
	v_lshlrev_b32_e32 v84, 2, v6
	v_lshlrev_b32_e32 v85, 2, v5
	ds_read2st64_b32 v[5:6], v56 offset1:30
	v_lshlrev_b32_e32 v87, 2, v7
	global_load_dword v89, v81, s[12:13] offset:920
	global_load_dword v90, v82, s[12:13] offset:920
	;; [unrolled: 1-line block ×5, first 2 shown]
	global_load_dword v94, v[9:10], off offset:984
	v_lshrrev_b32_e32 v98, 23, v54
	v_lshrrev_b32_e32 v101, 23, v11
	s_waitcnt lgkmcnt(0)
	v_lshrrev_b32_e32 v7, 16, v6
	v_lshrrev_b32_e32 v104, 23, v12
	ds_read_b32 v107, v60
	ds_read_b32 v108, v72
	;; [unrolled: 1-line block ×14, first 2 shown]
	s_movk_i32 s0, 0xef
	v_cmp_lt_u32_e64 s[0:1], s0, v24
	v_lshlrev_b32_e32 v3, 2, v3
	s_movk_i32 s4, 0x1e0
	v_mul_lo_u16_sdwa v54, v54, s4 dst_sel:DWORD dst_unused:UNUSED_PAD src0_sel:BYTE_3 src1_sel:DWORD
	v_mul_lo_u16_sdwa v12, v12, s4 dst_sel:DWORD dst_unused:UNUSED_PAD src0_sel:BYTE_3 src1_sel:DWORD
	v_sub_u16_e32 v54, v34, v54
	v_sub_u16_e32 v12, v38, v12
	s_waitcnt vmcnt(7)
	v_mul_f16_sdwa v8, v52, v6 dst_sel:DWORD dst_unused:UNUSED_PAD src0_sel:WORD_1 src1_sel:DWORD
	v_fma_f16 v8, v52, v7, v8
	v_mul_f16_sdwa v7, v52, v7 dst_sel:DWORD dst_unused:UNUSED_PAD src0_sel:WORD_1 src1_sel:DWORD
	v_fma_f16 v6, v52, v6, -v7
	v_lshrrev_b32_e32 v7, 16, v5
	v_sub_f16_e32 v6, v5, v6
	v_sub_f16_e32 v8, v7, v8
	v_fma_f16 v5, v5, 2.0, -v6
	v_fma_f16 v7, v7, 2.0, -v8
	v_pack_b32_f16 v95, v5, v7
	v_lshrrev_b32_e32 v5, 23, v55
	v_mul_lo_u16_e32 v5, 0xf0, v5
	v_sub_u16_e32 v5, v32, v5
	v_lshlrev_b32_e32 v97, 2, v5
	v_mul_lo_u16_e32 v5, 0xf0, v98
	v_sub_u16_e32 v5, v34, v5
	v_lshlrev_b32_e32 v99, 2, v5
	v_lshrrev_b32_e32 v5, 23, v16
	v_mul_lo_u16_e32 v5, 0xf0, v5
	v_sub_u16_e32 v5, v26, v5
	v_lshlrev_b32_e32 v100, 2, v5
	v_mul_lo_u16_e32 v5, 0xf0, v101
	v_sub_u16_e32 v5, v30, v5
	v_lshlrev_b32_e32 v102, 2, v5
	;; [unrolled: 7-line block ×3, first 2 shown]
	v_lshrrev_b32_e32 v5, 23, v13
	v_mul_lo_u16_e32 v5, 0xf0, v5
	v_sub_u16_e32 v5, v40, v5
	v_lshlrev_b32_e32 v106, 2, v5
	global_load_dword v121, v97, s[12:13] offset:920
	global_load_dword v122, v99, s[12:13] offset:920
	;; [unrolled: 1-line block ×7, first 2 shown]
	v_pack_b32_f16 v96, v6, v8
	ds_read2st64_b32 v[5:6], v56 offset0:32 offset1:34
	ds_read2st64_b32 v[7:8], v56 offset0:36 offset1:38
	ds_read2st64_b32 v[50:51], v56 offset0:40 offset1:42
	ds_read2st64_b32 v[52:53], v56 offset0:44 offset1:46
	ds_read2st64_b32 v[74:75], v56 offset0:48 offset1:50
	ds_read2st64_b32 v[76:77], v56 offset0:52 offset1:54
	ds_read2st64_b32 v[78:79], v56 offset0:56 offset1:58
	s_waitcnt vmcnt(0) lgkmcnt(0)
	s_barrier
	ds_write2_b32 v56, v95, v96 offset1:240
	v_lshrrev_b32_e32 v95, 16, v5
	v_mul_f16_sdwa v96, v88, v5 dst_sel:DWORD dst_unused:UNUSED_PAD src0_sel:WORD_1 src1_sel:DWORD
	v_fma_f16 v96, v88, v95, v96
	v_mul_f16_sdwa v95, v88, v95 dst_sel:DWORD dst_unused:UNUSED_PAD src0_sel:WORD_1 src1_sel:DWORD
	v_fma_f16 v5, v88, v5, -v95
	v_mov_b32_e32 v88, 0x780
	v_cndmask_b32_e64 v88, 0, v88, s[0:1]
	v_add3_u32 v3, 0, v88, v3
	v_lshrrev_b32_e32 v88, 16, v119
	v_sub_f16_e32 v5, v119, v5
	v_sub_f16_e32 v95, v88, v96
	v_fma_f16 v96, v119, 2.0, -v5
	v_fma_f16 v88, v88, 2.0, -v95
	v_pack_b32_f16 v88, v96, v88
	v_pack_b32_f16 v5, v5, v95
	ds_write2_b32 v3, v88, v5 offset1:240
	v_lshrrev_b32_e32 v3, 16, v6
	v_mul_f16_sdwa v5, v94, v3 dst_sel:DWORD dst_unused:UNUSED_PAD src0_sel:WORD_1 src1_sel:DWORD
	v_fma_f16 v5, v94, v6, -v5
	v_mul_f16_sdwa v6, v94, v6 dst_sel:DWORD dst_unused:UNUSED_PAD src0_sel:WORD_1 src1_sel:DWORD
	v_fma_f16 v3, v94, v3, v6
	v_lshrrev_b32_e32 v6, 16, v118
	v_sub_f16_e32 v5, v118, v5
	v_sub_f16_e32 v3, v6, v3
	v_fma_f16 v88, v118, 2.0, -v5
	v_fma_f16 v6, v6, 2.0, -v3
	v_pack_b32_f16 v6, v88, v6
	v_pack_b32_f16 v3, v5, v3
	v_add_u32_e32 v5, 0x7c0, v56
	ds_write2_b32 v5, v6, v3 offset1:240
	v_lshrrev_b32_e32 v3, 16, v7
	v_mul_f16_sdwa v5, v7, v89 dst_sel:DWORD dst_unused:UNUSED_PAD src0_sel:DWORD src1_sel:WORD_1
	v_fma_f16 v5, v3, v89, v5
	v_mul_f16_sdwa v3, v3, v89 dst_sel:DWORD dst_unused:UNUSED_PAD src0_sel:DWORD src1_sel:WORD_1
	v_fma_f16 v3, v7, v89, -v3
	v_lshrrev_b32_e32 v7, 16, v113
	v_sub_f16_e32 v3, v113, v3
	v_sub_f16_e32 v5, v7, v5
	v_mul_u32_u24_e32 v6, 0x780, v80
	v_fma_f16 v80, v113, 2.0, -v3
	v_fma_f16 v7, v7, 2.0, -v5
	v_add3_u32 v6, 0, v6, v81
	v_pack_b32_f16 v7, v80, v7
	v_pack_b32_f16 v3, v3, v5
	ds_write2_b32 v6, v7, v3 offset1:240
	v_lshrrev_b32_e32 v3, 16, v8
	v_mul_f16_sdwa v5, v3, v90 dst_sel:DWORD dst_unused:UNUSED_PAD src0_sel:DWORD src1_sel:WORD_1
	v_mul_f16_sdwa v6, v8, v90 dst_sel:DWORD dst_unused:UNUSED_PAD src0_sel:DWORD src1_sel:WORD_1
	v_fma_f16 v5, v8, v90, -v5
	v_fma_f16 v3, v3, v90, v6
	v_lshrrev_b32_e32 v6, 16, v112
	v_sub_f16_e32 v5, v112, v5
	v_sub_f16_e32 v3, v6, v3
	v_fma_f16 v7, v112, 2.0, -v5
	v_fma_f16 v6, v6, 2.0, -v3
	v_pack_b32_f16 v3, v5, v3
	v_add_u32_e32 v5, 0, v82
	v_pack_b32_f16 v6, v7, v6
	v_add_u32_e32 v5, 0xf00, v5
	ds_write2_b32 v5, v6, v3 offset1:240
	v_lshrrev_b32_e32 v3, 16, v50
	v_mul_f16_sdwa v5, v50, v91 dst_sel:DWORD dst_unused:UNUSED_PAD src0_sel:DWORD src1_sel:WORD_1
	v_fma_f16 v5, v3, v91, v5
	v_mul_f16_sdwa v3, v3, v91 dst_sel:DWORD dst_unused:UNUSED_PAD src0_sel:DWORD src1_sel:WORD_1
	v_fma_f16 v3, v50, v91, -v3
	v_lshrrev_b32_e32 v7, 16, v107
	v_sub_f16_e32 v3, v107, v3
	v_sub_f16_e32 v5, v7, v5
	v_mul_u32_u24_e32 v6, 0x780, v83
	v_fma_f16 v8, v107, 2.0, -v3
	v_fma_f16 v7, v7, 2.0, -v5
	v_add3_u32 v6, 0, v6, v84
	v_pack_b32_f16 v7, v8, v7
	v_pack_b32_f16 v3, v3, v5
	ds_write2_b32 v6, v7, v3 offset1:240
	v_lshrrev_b32_e32 v3, 16, v51
	v_mul_f16_sdwa v5, v3, v92 dst_sel:DWORD dst_unused:UNUSED_PAD src0_sel:DWORD src1_sel:WORD_1
	v_mul_f16_sdwa v6, v51, v92 dst_sel:DWORD dst_unused:UNUSED_PAD src0_sel:DWORD src1_sel:WORD_1
	v_fma_f16 v5, v51, v92, -v5
	v_fma_f16 v3, v3, v92, v6
	v_lshrrev_b32_e32 v6, 16, v108
	v_sub_f16_e32 v5, v108, v5
	v_sub_f16_e32 v3, v6, v3
	v_fma_f16 v7, v108, 2.0, -v5
	v_fma_f16 v6, v6, 2.0, -v3
	v_pack_b32_f16 v3, v5, v3
	v_add_u32_e32 v5, 0, v85
	;; [unrolled: 30-line block ×6, first 2 shown]
	v_pack_b32_f16 v6, v7, v6
	v_add_u32_e32 v5, 0x3480, v5
	ds_write2_b32 v5, v6, v3 offset1:240
	v_lshlrev_b64 v[5:6], 2, v[24:25]
	v_add_u32_e32 v3, 0xffffffa0, v0
	v_cmp_gt_u32_e64 s[0:1], s4, v48
	v_cndmask_b32_e64 v3, v3, v48, s[0:1]
	v_add_co_u32_e64 v50, s[0:1], s12, v5
	v_addc_co_u32_e64 v51, s[0:1], v73, v6, s[0:1]
	s_waitcnt lgkmcnt(0)
	s_barrier
	global_load_dword v25, v[50:51], off offset:1880
	v_lshlrev_b64 v[7:8], 2, v[22:23]
	v_lshlrev_b64 v[74:75], 2, v[3:4]
	v_add_co_u32_e64 v52, s[0:1], s12, v7
	v_addc_co_u32_e64 v53, s[0:1], v73, v8, s[0:1]
	global_load_dword v23, v[52:53], off offset:1880
	v_add_co_u32_e64 v74, s[0:1], s12, v74
	v_addc_co_u32_e64 v75, s[0:1], v73, v75, s[0:1]
	global_load_dword v78, v[74:75], off offset:1880
	global_load_dword v79, v[9:10], off offset:2008
	;; [unrolled: 1-line block ×4, first 2 shown]
	v_mul_lo_u16_sdwa v76, v15, s4 dst_sel:DWORD dst_unused:UNUSED_PAD src0_sel:BYTE_3 src1_sel:DWORD
	v_sub_u16_e32 v76, v36, v76
	v_lshlrev_b32_e32 v82, 2, v76
	ds_read2st64_b32 v[74:75], v56 offset0:32 offset1:34
	global_load_dword v83, v82, s[12:13] offset:1880
	global_load_dword v84, v[9:10], off offset:3032
	v_mul_lo_u16_sdwa v55, v55, s4 dst_sel:DWORD dst_unused:UNUSED_PAD src0_sel:BYTE_3 src1_sel:DWORD
	v_sub_u16_e32 v55, v32, v55
	v_lshlrev_b32_e32 v94, 2, v54
	s_waitcnt lgkmcnt(0)
	v_lshrrev_b32_e32 v76, 16, v74
	v_mul_lo_u16_sdwa v16, v16, s4 dst_sel:DWORD dst_unused:UNUSED_PAD src0_sel:BYTE_3 src1_sel:DWORD
	v_mul_lo_u16_sdwa v54, v11, s4 dst_sel:DWORD dst_unused:UNUSED_PAD src0_sel:BYTE_3 src1_sel:DWORD
	v_mul_lo_u16_sdwa v14, v14, s4 dst_sel:DWORD dst_unused:UNUSED_PAD src0_sel:BYTE_3 src1_sel:DWORD
	v_lshlrev_b32_e32 v96, 2, v12
	v_mul_lo_u16_sdwa v12, v13, s4 dst_sel:DWORD dst_unused:UNUSED_PAD src0_sel:BYTE_3 src1_sel:DWORD
	v_lshlrev_b32_e32 v93, 2, v55
	v_sub_u16_e32 v16, v26, v16
	v_sub_u16_e32 v54, v30, v54
	;; [unrolled: 1-line block ×4, first 2 shown]
	v_lshlrev_b32_e32 v16, 2, v16
	v_lshlrev_b32_e32 v95, 2, v54
	;; [unrolled: 1-line block ×4, first 2 shown]
	s_movk_i32 s0, 0x1df
	v_cmp_lt_u32_e64 s[0:1], s0, v48
	v_lshlrev_b32_e32 v3, 2, v3
	s_movk_i32 s4, 0x1000
	v_lshlrev_b64 v[34:35], 2, v[34:35]
	v_lshlrev_b64 v[30:31], 2, v[30:31]
	s_waitcnt vmcnt(7)
	v_mul_f16_sdwa v77, v25, v74 dst_sel:DWORD dst_unused:UNUSED_PAD src0_sel:WORD_1 src1_sel:DWORD
	v_fma_f16 v85, v25, v76, v77
	v_mul_f16_sdwa v76, v25, v76 dst_sel:DWORD dst_unused:UNUSED_PAD src0_sel:WORD_1 src1_sel:DWORD
	v_fma_f16 v25, v25, v74, -v76
	ds_read2st64_b32 v[76:77], v56 offset0:36 offset1:38
	v_lshrrev_b32_e32 v74, 16, v75
	s_waitcnt vmcnt(6)
	v_mul_f16_sdwa v86, v23, v74 dst_sel:DWORD dst_unused:UNUSED_PAD src0_sel:WORD_1 src1_sel:DWORD
	v_fma_f16 v86, v23, v75, -v86
	v_mul_f16_sdwa v75, v23, v75 dst_sel:DWORD dst_unused:UNUSED_PAD src0_sel:WORD_1 src1_sel:DWORD
	v_fma_f16 v23, v23, v74, v75
	s_waitcnt lgkmcnt(0)
	v_lshrrev_b32_e32 v74, 16, v76
	s_waitcnt vmcnt(5)
	v_mul_f16_sdwa v75, v76, v78 dst_sel:DWORD dst_unused:UNUSED_PAD src0_sel:DWORD src1_sel:WORD_1
	v_fma_f16 v87, v74, v78, v75
	v_mul_f16_sdwa v74, v74, v78 dst_sel:DWORD dst_unused:UNUSED_PAD src0_sel:DWORD src1_sel:WORD_1
	v_fma_f16 v88, v76, v78, -v74
	ds_read2st64_b32 v[74:75], v56 offset1:30
	ds_read_b32 v98, v60
	ds_read_b32 v99, v72
	ds_read_b32 v100, v71
	ds_read_b32 v101, v70
	ds_read_b32 v102, v69
	ds_read_b32 v103, v61
	ds_read_b32 v104, v62
	ds_read_b32 v105, v58
	ds_read_b32 v106, v68
	ds_read_b32 v107, v67
	ds_read_b32 v108, v66
	ds_read_b32 v109, v64
	ds_read_b32 v110, v65
	ds_read_b32 v111, v17
	global_load_dword v112, v93, s[12:13] offset:1880
	global_load_dword v113, v94, s[12:13] offset:1880
	;; [unrolled: 1-line block ×7, first 2 shown]
	v_lshrrev_b32_e32 v76, 16, v77
	s_waitcnt vmcnt(11)
	v_mul_f16_sdwa v78, v76, v79 dst_sel:DWORD dst_unused:UNUSED_PAD src0_sel:DWORD src1_sel:WORD_1
	v_fma_f16 v89, v77, v79, -v78
	v_mul_f16_sdwa v77, v77, v79 dst_sel:DWORD dst_unused:UNUSED_PAD src0_sel:DWORD src1_sel:WORD_1
	v_fma_f16 v90, v76, v79, v77
	s_waitcnt lgkmcnt(14)
	v_lshrrev_b32_e32 v76, 16, v75
	s_waitcnt vmcnt(9)
	v_mul_f16_sdwa v77, v81, v75 dst_sel:DWORD dst_unused:UNUSED_PAD src0_sel:WORD_1 src1_sel:DWORD
	v_fma_f16 v77, v81, v76, v77
	v_mul_f16_sdwa v76, v81, v76 dst_sel:DWORD dst_unused:UNUSED_PAD src0_sel:WORD_1 src1_sel:DWORD
	v_fma_f16 v75, v81, v75, -v76
	v_sub_f16_e32 v81, v74, v75
	v_lshrrev_b32_e32 v75, 16, v74
	v_sub_f16_e32 v91, v75, v77
	v_fma_f16 v74, v74, 2.0, -v81
	v_fma_f16 v75, v75, 2.0, -v91
	v_pack_b32_f16 v81, v81, v91
	v_pack_b32_f16 v92, v74, v75
	ds_read2st64_b32 v[12:13], v56 offset0:40 offset1:42
	ds_read2st64_b32 v[54:55], v56 offset0:44 offset1:46
	;; [unrolled: 1-line block ×5, first 2 shown]
	s_waitcnt vmcnt(0) lgkmcnt(0)
	s_barrier
	ds_write_b32 v56, v81 offset:1920
	v_lshrrev_b32_e32 v81, 16, v110
	v_sub_f16_e32 v25, v110, v25
	v_sub_f16_e32 v85, v81, v85
	v_fma_f16 v91, v110, 2.0, -v25
	v_fma_f16 v81, v81, 2.0, -v85
	v_pack_b32_f16 v81, v91, v81
	ds_write_b32 v56, v92
	ds_write_b32 v65, v81
	v_pack_b32_f16 v25, v25, v85
	v_lshrrev_b32_e32 v81, 16, v109
	ds_write_b32 v65, v25 offset:1920
	v_sub_f16_e32 v25, v109, v86
	v_sub_f16_e32 v23, v81, v23
	v_fma_f16 v81, v81, 2.0, -v23
	v_pack_b32_f16 v23, v25, v23
	v_fma_f16 v85, v109, 2.0, -v25
	ds_write_b32 v64, v23 offset:1920
	v_mov_b32_e32 v23, 0xf00
	v_pack_b32_f16 v81, v85, v81
	v_cndmask_b32_e64 v23, 0, v23, s[0:1]
	v_lshrrev_b32_e32 v25, 16, v104
	ds_write_b32 v64, v81
	v_add3_u32 v3, 0, v23, v3
	v_sub_f16_e32 v23, v104, v88
	v_sub_f16_e32 v81, v25, v87
	v_fma_f16 v85, v104, 2.0, -v23
	v_fma_f16 v25, v25, 2.0, -v81
	v_pack_b32_f16 v25, v85, v25
	v_pack_b32_f16 v23, v23, v81
	ds_write_b32 v3, v25
	ds_write_b32 v3, v23 offset:1920
	v_lshrrev_b32_e32 v3, 16, v12
	v_mul_f16_sdwa v23, v12, v80 dst_sel:DWORD dst_unused:UNUSED_PAD src0_sel:DWORD src1_sel:WORD_1
	v_fma_f16 v23, v3, v80, v23
	v_mul_f16_sdwa v3, v3, v80 dst_sel:DWORD dst_unused:UNUSED_PAD src0_sel:DWORD src1_sel:WORD_1
	v_lshrrev_b32_e32 v25, 16, v103
	v_fma_f16 v3, v12, v80, -v3
	v_sub_f16_e32 v12, v103, v89
	v_sub_f16_e32 v80, v25, v90
	v_fma_f16 v81, v103, 2.0, -v12
	v_fma_f16 v25, v25, 2.0, -v80
	v_pack_b32_f16 v25, v81, v25
	v_lshrrev_b32_e32 v81, 16, v98
	v_sub_f16_e32 v3, v98, v3
	v_sub_f16_e32 v23, v81, v23
	v_fma_f16 v85, v98, 2.0, -v3
	v_fma_f16 v81, v81, 2.0, -v23
	v_pack_b32_f16 v81, v85, v81
	v_add_u32_e32 v85, 0x80, v56
	ds_write2st64_b32 v85, v25, v81 offset0:15 offset1:17
	v_lshrrev_b32_e32 v25, 16, v13
	v_mul_f16_sdwa v81, v25, v84 dst_sel:DWORD dst_unused:UNUSED_PAD src0_sel:DWORD src1_sel:WORD_1
	v_fma_f16 v81, v13, v84, -v81
	v_mul_f16_sdwa v13, v13, v84 dst_sel:DWORD dst_unused:UNUSED_PAD src0_sel:DWORD src1_sel:WORD_1
	v_fma_f16 v13, v25, v84, v13
	v_pack_b32_f16 v12, v12, v80
	v_lshrrev_b32_e32 v80, 16, v99
	v_sub_f16_e32 v25, v99, v81
	v_sub_f16_e32 v13, v80, v13
	v_fma_f16 v81, v99, 2.0, -v25
	v_fma_f16 v80, v80, 2.0, -v13
	v_pack_b32_f16 v80, v81, v80
	v_add_u32_e32 v81, 0x1380, v56
	ds_write2_b32 v81, v80, v12 offset1:224
	v_lshrrev_b32_e32 v12, 16, v54
	v_mul_f16_sdwa v80, v54, v83 dst_sel:DWORD dst_unused:UNUSED_PAD src0_sel:DWORD src1_sel:WORD_1
	v_fma_f16 v80, v12, v83, v80
	v_mul_f16_sdwa v12, v12, v83 dst_sel:DWORD dst_unused:UNUSED_PAD src0_sel:DWORD src1_sel:WORD_1
	v_pack_b32_f16 v3, v3, v23
	v_pack_b32_f16 v13, v25, v13
	v_fma_f16 v12, v54, v83, -v12
	v_lshrrev_b32_e32 v54, 16, v55
	ds_write2st64_b32 v56, v3, v13 offset0:25 offset1:27
	s_movk_i32 s0, 0xf00
	v_lshrrev_b32_e32 v13, 16, v100
	v_mul_f16_sdwa v81, v54, v112 dst_sel:DWORD dst_unused:UNUSED_PAD src0_sel:DWORD src1_sel:WORD_1
	v_mul_u32_u24_sdwa v3, v15, s0 dst_sel:DWORD dst_unused:UNUSED_PAD src0_sel:BYTE_3 src1_sel:DWORD
	v_sub_f16_e32 v12, v100, v12
	v_sub_f16_e32 v15, v13, v80
	v_fma_f16 v81, v55, v112, -v81
	v_mul_f16_sdwa v55, v55, v112 dst_sel:DWORD dst_unused:UNUSED_PAD src0_sel:DWORD src1_sel:WORD_1
	v_add3_u32 v3, 0, v3, v82
	v_fma_f16 v23, v100, 2.0, -v12
	v_fma_f16 v13, v13, 2.0, -v15
	v_pack_b32_f16 v12, v12, v15
	v_fma_f16 v54, v54, v112, v55
	v_pack_b32_f16 v13, v23, v13
	ds_write_b32 v3, v12 offset:1920
	v_lshrrev_b32_e32 v12, 16, v101
	ds_write_b32 v3, v13
	v_sub_f16_e32 v3, v101, v81
	v_sub_f16_e32 v13, v12, v54
	v_lshrrev_b32_e32 v55, 16, v74
	v_mul_f16_sdwa v83, v74, v113 dst_sel:DWORD dst_unused:UNUSED_PAD src0_sel:DWORD src1_sel:WORD_1
	v_fma_f16 v15, v101, 2.0, -v3
	v_fma_f16 v12, v12, 2.0, -v13
	v_fma_f16 v83, v55, v113, v83
	v_mul_f16_sdwa v55, v55, v113 dst_sel:DWORD dst_unused:UNUSED_PAD src0_sel:DWORD src1_sel:WORD_1
	v_pack_b32_f16 v12, v15, v12
	v_add_u32_e32 v15, 0, v93
	v_fma_f16 v55, v74, v113, -v55
	ds_write_b32 v15, v12 offset:7680
	v_pack_b32_f16 v3, v3, v13
	v_lshrrev_b32_e32 v12, 16, v102
	v_lshrrev_b32_e32 v74, 16, v75
	ds_write_b32 v15, v3 offset:9600
	v_sub_f16_e32 v3, v102, v55
	v_sub_f16_e32 v13, v12, v83
	v_mul_f16_sdwa v84, v74, v114 dst_sel:DWORD dst_unused:UNUSED_PAD src0_sel:DWORD src1_sel:WORD_1
	v_fma_f16 v15, v102, 2.0, -v3
	v_fma_f16 v12, v12, 2.0, -v13
	v_fma_f16 v84, v75, v114, -v84
	v_mul_f16_sdwa v75, v75, v114 dst_sel:DWORD dst_unused:UNUSED_PAD src0_sel:DWORD src1_sel:WORD_1
	v_pack_b32_f16 v12, v15, v12
	v_add_u32_e32 v15, 0, v94
	v_fma_f16 v74, v74, v114, v75
	ds_write_b32 v15, v12 offset:7680
	v_pack_b32_f16 v3, v3, v13
	v_lshrrev_b32_e32 v12, 16, v105
	ds_write_b32 v15, v3 offset:9600
	v_sub_f16_e32 v3, v105, v84
	v_sub_f16_e32 v13, v12, v74
	v_lshrrev_b32_e32 v75, 16, v76
	v_mul_f16_sdwa v85, v76, v115 dst_sel:DWORD dst_unused:UNUSED_PAD src0_sel:DWORD src1_sel:WORD_1
	v_fma_f16 v15, v105, 2.0, -v3
	v_fma_f16 v12, v12, 2.0, -v13
	v_fma_f16 v85, v75, v115, v85
	v_mul_f16_sdwa v75, v75, v115 dst_sel:DWORD dst_unused:UNUSED_PAD src0_sel:DWORD src1_sel:WORD_1
	v_pack_b32_f16 v12, v15, v12
	v_add_u32_e32 v15, 0, v16
	v_fma_f16 v75, v76, v115, -v75
	v_lshrrev_b32_e32 v76, 16, v77
	ds_write_b32 v15, v12 offset:7680
	v_pack_b32_f16 v3, v3, v13
	v_lshrrev_b32_e32 v12, 16, v106
	v_mul_f16_sdwa v86, v76, v116 dst_sel:DWORD dst_unused:UNUSED_PAD src0_sel:DWORD src1_sel:WORD_1
	ds_write_b32 v15, v3 offset:9600
	v_mul_u32_u24_sdwa v3, v11, s0 dst_sel:DWORD dst_unused:UNUSED_PAD src0_sel:BYTE_3 src1_sel:DWORD
	v_sub_f16_e32 v11, v106, v75
	v_sub_f16_e32 v13, v12, v85
	v_fma_f16 v86, v77, v116, -v86
	v_mul_f16_sdwa v77, v77, v116 dst_sel:DWORD dst_unused:UNUSED_PAD src0_sel:DWORD src1_sel:WORD_1
	v_add3_u32 v3, 0, v3, v95
	v_fma_f16 v15, v106, 2.0, -v11
	v_fma_f16 v12, v12, 2.0, -v13
	v_pack_b32_f16 v11, v11, v13
	v_fma_f16 v76, v76, v116, v77
	v_pack_b32_f16 v12, v15, v12
	ds_write_b32 v3, v11 offset:1920
	v_lshrrev_b32_e32 v11, 16, v107
	ds_write_b32 v3, v12
	v_sub_f16_e32 v3, v107, v86
	v_sub_f16_e32 v12, v11, v76
	v_lshrrev_b32_e32 v77, 16, v78
	v_mul_f16_sdwa v87, v78, v117 dst_sel:DWORD dst_unused:UNUSED_PAD src0_sel:DWORD src1_sel:WORD_1
	v_fma_f16 v13, v107, 2.0, -v3
	v_fma_f16 v11, v11, 2.0, -v12
	v_fma_f16 v87, v77, v117, v87
	v_mul_f16_sdwa v77, v77, v117 dst_sel:DWORD dst_unused:UNUSED_PAD src0_sel:DWORD src1_sel:WORD_1
	v_pack_b32_f16 v11, v13, v11
	v_add_u32_e32 v13, 0, v14
	v_fma_f16 v77, v78, v117, -v77
	ds_write_b32 v13, v11 offset:11520
	v_pack_b32_f16 v3, v3, v12
	v_lshrrev_b32_e32 v11, 16, v108
	v_lshrrev_b32_e32 v78, 16, v79
	ds_write_b32 v13, v3 offset:13440
	v_sub_f16_e32 v3, v108, v77
	v_sub_f16_e32 v12, v11, v87
	v_mul_f16_sdwa v88, v78, v118 dst_sel:DWORD dst_unused:UNUSED_PAD src0_sel:DWORD src1_sel:WORD_1
	v_fma_f16 v13, v108, 2.0, -v3
	v_fma_f16 v11, v11, 2.0, -v12
	v_fma_f16 v88, v79, v118, -v88
	v_mul_f16_sdwa v79, v79, v118 dst_sel:DWORD dst_unused:UNUSED_PAD src0_sel:DWORD src1_sel:WORD_1
	v_pack_b32_f16 v11, v13, v11
	v_add_u32_e32 v13, 0, v96
	v_fma_f16 v78, v78, v118, v79
	ds_write_b32 v13, v11 offset:11520
	v_pack_b32_f16 v3, v3, v12
	v_lshrrev_b32_e32 v11, 16, v111
	ds_write_b32 v13, v3 offset:13440
	v_sub_f16_e32 v3, v111, v88
	v_sub_f16_e32 v12, v11, v78
	v_fma_f16 v13, v111, 2.0, -v3
	v_fma_f16 v11, v11, 2.0, -v12
	v_pack_b32_f16 v11, v13, v11
	v_add_u32_e32 v13, 0, v97
	ds_write_b32 v13, v11 offset:11520
	v_pack_b32_f16 v3, v3, v12
	v_lshlrev_b64 v[11:12], 2, v[48:49]
	ds_write_b32 v13, v3 offset:13440
	s_waitcnt lgkmcnt(0)
	s_barrier
	global_load_dword v3, v[50:51], off offset:3800
	global_load_dword v23, v[52:53], off offset:3800
	v_add_co_u32_e64 v48, s[0:1], s12, v11
	v_lshlrev_b64 v[13:14], 2, v[46:47]
	v_addc_co_u32_e64 v49, s[0:1], v73, v12, s[0:1]
	v_add_co_u32_e64 v46, s[0:1], s12, v13
	v_lshlrev_b64 v[15:16], 2, v[42:43]
	v_addc_co_u32_e64 v47, s[0:1], v73, v14, s[0:1]
	v_add_co_u32_e64 v54, s[0:1], s12, v15
	v_addc_co_u32_e64 v55, s[0:1], v73, v16, s[0:1]
	global_load_dword v79, v[54:55], off offset:3800
	global_load_dword v25, v[48:49], off offset:3800
	;; [unrolled: 1-line block ×3, first 2 shown]
	v_lshlrev_b64 v[42:43], 2, v[44:45]
	v_add_co_u32_e64 v44, s[0:1], s12, v42
	v_addc_co_u32_e64 v45, s[0:1], v73, v43, s[0:1]
	global_load_dword v80, v[44:45], off offset:3800
	global_load_dword v81, v[9:10], off offset:3800
	ds_read2st64_b32 v[74:75], v56 offset0:32 offset1:34
	s_movk_i32 s0, 0x3c0
	v_cmp_gt_u32_e64 s[0:1], s0, v36
	global_load_dword v82, v[9:10], off offset:4056
	s_waitcnt lgkmcnt(0)
	v_lshrrev_b32_e32 v76, 16, v74
	s_waitcnt vmcnt(7)
	v_mul_f16_sdwa v77, v3, v74 dst_sel:DWORD dst_unused:UNUSED_PAD src0_sel:WORD_1 src1_sel:DWORD
	v_fma_f16 v83, v3, v76, v77
	v_mul_f16_sdwa v76, v3, v76 dst_sel:DWORD dst_unused:UNUSED_PAD src0_sel:WORD_1 src1_sel:DWORD
	v_fma_f16 v84, v3, v74, -v76
	ds_read2st64_b32 v[76:77], v56 offset0:36 offset1:38
	v_lshrrev_b32_e32 v3, 16, v75
	s_waitcnt vmcnt(6)
	v_mul_f16_sdwa v74, v23, v3 dst_sel:DWORD dst_unused:UNUSED_PAD src0_sel:WORD_1 src1_sel:DWORD
	v_fma_f16 v85, v23, v75, -v74
	v_mul_f16_sdwa v74, v23, v75 dst_sel:DWORD dst_unused:UNUSED_PAD src0_sel:WORD_1 src1_sel:DWORD
	v_fma_f16 v23, v23, v3, v74
	s_waitcnt lgkmcnt(0)
	v_lshrrev_b32_e32 v3, 16, v76
	s_waitcnt vmcnt(4)
	v_mul_f16_sdwa v74, v76, v25 dst_sel:DWORD dst_unused:UNUSED_PAD src0_sel:DWORD src1_sel:WORD_1
	v_fma_f16 v86, v3, v25, v74
	ds_read2st64_b32 v[74:75], v56 offset0:40 offset1:42
	v_mul_f16_sdwa v3, v3, v25 dst_sel:DWORD dst_unused:UNUSED_PAD src0_sel:DWORD src1_sel:WORD_1
	v_fma_f16 v25, v76, v25, -v3
	v_lshrrev_b32_e32 v3, 16, v77
	s_waitcnt vmcnt(3)
	v_mul_f16_sdwa v76, v3, v78 dst_sel:DWORD dst_unused:UNUSED_PAD src0_sel:DWORD src1_sel:WORD_1
	v_fma_f16 v87, v77, v78, -v76
	v_mul_f16_sdwa v76, v77, v78 dst_sel:DWORD dst_unused:UNUSED_PAD src0_sel:DWORD src1_sel:WORD_1
	v_fma_f16 v88, v3, v78, v76
	s_waitcnt lgkmcnt(0)
	v_lshrrev_b32_e32 v3, 16, v74
	v_mul_f16_sdwa v76, v74, v79 dst_sel:DWORD dst_unused:UNUSED_PAD src0_sel:DWORD src1_sel:WORD_1
	v_fma_f16 v89, v3, v79, v76
	v_mul_f16_sdwa v3, v3, v79 dst_sel:DWORD dst_unused:UNUSED_PAD src0_sel:DWORD src1_sel:WORD_1
	v_fma_f16 v90, v74, v79, -v3
	v_lshrrev_b32_e32 v3, 16, v75
	s_waitcnt vmcnt(2)
	v_mul_f16_sdwa v74, v3, v80 dst_sel:DWORD dst_unused:UNUSED_PAD src0_sel:DWORD src1_sel:WORD_1
	v_fma_f16 v91, v75, v80, -v74
	v_mul_f16_sdwa v74, v75, v80 dst_sel:DWORD dst_unused:UNUSED_PAD src0_sel:DWORD src1_sel:WORD_1
	v_fma_f16 v92, v3, v80, v74
	v_add_u32_e32 v3, 0xfffffc40, v36
	v_cndmask_b32_e64 v3, v3, v36, s[0:1]
	v_lshlrev_b64 v[74:75], 2, v[3:4]
	ds_read2st64_b32 v[76:77], v56 offset1:30
	v_add_co_u32_e64 v74, s[0:1], s12, v74
	v_addc_co_u32_e64 v75, s[0:1], v73, v75, s[0:1]
	global_load_dword v93, v[74:75], off offset:3800
	v_add_co_u32_e64 v9, s[0:1], s4, v9
	v_addc_co_u32_e64 v10, s[0:1], 0, v10, s[0:1]
	ds_read_b32 v95, v60
	ds_read_b32 v96, v72
	;; [unrolled: 1-line block ×14, first 2 shown]
	global_load_dword v109, v[9:10], off offset:472
	global_load_dword v110, v[9:10], off offset:984
	;; [unrolled: 1-line block ×6, first 2 shown]
	s_waitcnt lgkmcnt(14)
	v_lshrrev_b32_e32 v4, 16, v77
	s_waitcnt vmcnt(8)
	v_mul_f16_sdwa v78, v81, v77 dst_sel:DWORD dst_unused:UNUSED_PAD src0_sel:WORD_1 src1_sel:DWORD
	v_fma_f16 v78, v81, v4, v78
	v_mul_f16_sdwa v4, v81, v4 dst_sel:DWORD dst_unused:UNUSED_PAD src0_sel:WORD_1 src1_sel:DWORD
	v_fma_f16 v4, v81, v77, -v4
	v_sub_f16_e32 v4, v76, v4
	v_lshrrev_b32_e32 v74, 16, v76
	v_fma_f16 v75, v76, 2.0, -v4
	v_sub_f16_e32 v76, v74, v78
	v_fma_f16 v74, v74, 2.0, -v76
	v_pack_b32_f16 v94, v75, v74
	v_pack_b32_f16 v4, v4, v76
	ds_read2st64_b32 v[74:75], v56 offset0:44 offset1:46
	ds_read2st64_b32 v[76:77], v56 offset0:48 offset1:50
	;; [unrolled: 1-line block ×4, first 2 shown]
	s_waitcnt vmcnt(0) lgkmcnt(0)
	s_barrier
	ds_write2st64_b32 v56, v94, v4 offset1:15
	v_sub_f16_e32 v4, v107, v84
	v_lshrrev_b32_e32 v84, 16, v107
	v_sub_f16_e32 v83, v84, v83
	v_fma_f16 v94, v107, 2.0, -v4
	v_fma_f16 v84, v84, 2.0, -v83
	v_pack_b32_f16 v84, v94, v84
	v_pack_b32_f16 v4, v4, v83
	v_lshrrev_b32_e32 v83, 16, v106
	ds_write2st64_b32 v65, v84, v4 offset1:15
	v_sub_f16_e32 v4, v106, v85
	v_sub_f16_e32 v23, v83, v23
	v_fma_f16 v84, v106, 2.0, -v4
	v_fma_f16 v83, v83, 2.0, -v23
	v_pack_b32_f16 v83, v84, v83
	v_pack_b32_f16 v4, v4, v23
	v_lshrrev_b32_e32 v23, 16, v101
	ds_write2st64_b32 v64, v83, v4 offset1:15
	v_sub_f16_e32 v4, v101, v25
	v_sub_f16_e32 v25, v23, v86
	v_fma_f16 v83, v101, 2.0, -v4
	v_fma_f16 v23, v23, 2.0, -v25
	v_pack_b32_f16 v23, v83, v23
	v_pack_b32_f16 v4, v4, v25
	ds_write2st64_b32 v62, v23, v4 offset1:15
	v_lshrrev_b32_e32 v23, 16, v100
	v_sub_f16_e32 v4, v100, v87
	v_sub_f16_e32 v25, v23, v88
	v_fma_f16 v83, v100, 2.0, -v4
	v_fma_f16 v23, v23, 2.0, -v25
	v_pack_b32_f16 v23, v83, v23
	v_pack_b32_f16 v4, v4, v25
	ds_write2st64_b32 v61, v23, v4 offset1:15
	v_lshrrev_b32_e32 v23, 16, v95
	;; [unrolled: 8-line block ×3, first 2 shown]
	v_sub_f16_e32 v4, v96, v91
	v_sub_f16_e32 v25, v23, v92
	v_fma_f16 v83, v96, 2.0, -v4
	v_fma_f16 v23, v23, 2.0, -v25
	v_pack_b32_f16 v23, v83, v23
	v_pack_b32_f16 v4, v4, v25
	s_movk_i32 s0, 0x3bf
	ds_write2st64_b32 v72, v23, v4 offset1:15
	v_lshrrev_b32_e32 v4, 16, v74
	v_mov_b32_e32 v25, 0x1e00
	v_cmp_lt_u32_e64 s[0:1], s0, v36
	v_lshlrev_b32_e32 v3, 2, v3
	v_cndmask_b32_e64 v25, 0, v25, s[0:1]
	v_add3_u32 v3, 0, v25, v3
	v_lshrrev_b32_e32 v25, 16, v97
	v_mul_f16_sdwa v23, v74, v93 dst_sel:DWORD dst_unused:UNUSED_PAD src0_sel:DWORD src1_sel:WORD_1
	v_fma_f16 v23, v4, v93, v23
	v_mul_f16_sdwa v4, v4, v93 dst_sel:DWORD dst_unused:UNUSED_PAD src0_sel:DWORD src1_sel:WORD_1
	v_fma_f16 v4, v74, v93, -v4
	v_sub_f16_e32 v4, v97, v4
	v_sub_f16_e32 v23, v25, v23
	v_fma_f16 v74, v97, 2.0, -v4
	v_fma_f16 v25, v25, 2.0, -v23
	v_pack_b32_f16 v25, v74, v25
	v_pack_b32_f16 v4, v4, v23
	ds_write2st64_b32 v3, v25, v4 offset1:15
	v_lshrrev_b32_e32 v3, 16, v75
	v_mul_f16_sdwa v23, v75, v82 dst_sel:DWORD dst_unused:UNUSED_PAD src0_sel:DWORD src1_sel:WORD_1
	v_mul_f16_sdwa v4, v3, v82 dst_sel:DWORD dst_unused:UNUSED_PAD src0_sel:DWORD src1_sel:WORD_1
	v_fma_f16 v3, v3, v82, v23
	v_lshrrev_b32_e32 v23, 16, v76
	v_mul_f16_sdwa v25, v76, v109 dst_sel:DWORD dst_unused:UNUSED_PAD src0_sel:DWORD src1_sel:WORD_1
	v_fma_f16 v25, v23, v109, v25
	v_mul_f16_sdwa v23, v23, v109 dst_sel:DWORD dst_unused:UNUSED_PAD src0_sel:DWORD src1_sel:WORD_1
	v_lshrrev_b32_e32 v74, 16, v77
	v_fma_f16 v4, v75, v82, -v4
	v_fma_f16 v23, v76, v109, -v23
	v_mul_f16_sdwa v75, v74, v110 dst_sel:DWORD dst_unused:UNUSED_PAD src0_sel:DWORD src1_sel:WORD_1
	v_mul_f16_sdwa v76, v77, v110 dst_sel:DWORD dst_unused:UNUSED_PAD src0_sel:DWORD src1_sel:WORD_1
	v_fma_f16 v75, v77, v110, -v75
	v_fma_f16 v74, v74, v110, v76
	v_lshrrev_b32_e32 v76, 16, v78
	v_mul_f16_sdwa v77, v78, v111 dst_sel:DWORD dst_unused:UNUSED_PAD src0_sel:DWORD src1_sel:WORD_1
	v_fma_f16 v77, v76, v111, v77
	v_mul_f16_sdwa v76, v76, v111 dst_sel:DWORD dst_unused:UNUSED_PAD src0_sel:DWORD src1_sel:WORD_1
	v_fma_f16 v76, v78, v111, -v76
	v_lshrrev_b32_e32 v78, 16, v79
	v_mul_f16_sdwa v82, v78, v112 dst_sel:DWORD dst_unused:UNUSED_PAD src0_sel:DWORD src1_sel:WORD_1
	v_fma_f16 v82, v79, v112, -v82
	v_mul_f16_sdwa v79, v79, v112 dst_sel:DWORD dst_unused:UNUSED_PAD src0_sel:DWORD src1_sel:WORD_1
	v_fma_f16 v78, v78, v112, v79
	v_lshrrev_b32_e32 v79, 16, v80
	v_mul_f16_sdwa v83, v80, v113 dst_sel:DWORD dst_unused:UNUSED_PAD src0_sel:DWORD src1_sel:WORD_1
	v_fma_f16 v83, v79, v113, v83
	v_mul_f16_sdwa v79, v79, v113 dst_sel:DWORD dst_unused:UNUSED_PAD src0_sel:DWORD src1_sel:WORD_1
	v_fma_f16 v79, v80, v113, -v79
	v_lshrrev_b32_e32 v80, 16, v81
	v_mul_f16_sdwa v84, v80, v114 dst_sel:DWORD dst_unused:UNUSED_PAD src0_sel:DWORD src1_sel:WORD_1
	v_fma_f16 v84, v81, v114, -v84
	v_mul_f16_sdwa v81, v81, v114 dst_sel:DWORD dst_unused:UNUSED_PAD src0_sel:DWORD src1_sel:WORD_1
	v_fma_f16 v80, v80, v114, v81
	v_lshrrev_b32_e32 v81, 16, v98
	v_sub_f16_e32 v4, v98, v4
	v_sub_f16_e32 v3, v81, v3
	v_fma_f16 v85, v98, 2.0, -v4
	v_fma_f16 v81, v81, 2.0, -v3
	v_pack_b32_f16 v81, v85, v81
	v_lshrrev_b32_e32 v85, 16, v99
	v_sub_f16_e32 v23, v99, v23
	v_sub_f16_e32 v25, v85, v25
	v_fma_f16 v86, v99, 2.0, -v23
	v_fma_f16 v85, v85, 2.0, -v25
	v_pack_b32_f16 v23, v23, v25
	v_sub_f16_e32 v25, v102, v75
	v_lshrrev_b32_e32 v75, 16, v102
	v_pack_b32_f16 v85, v86, v85
	v_sub_f16_e32 v74, v75, v74
	ds_write2st64_b32 v56, v81, v85 offset0:31 offset1:33
	v_pack_b32_f16 v81, v25, v74
	ds_write2st64_b32 v56, v23, v81 offset0:48 offset1:50
	v_fma_f16 v23, v102, 2.0, -v25
	v_fma_f16 v25, v75, 2.0, -v74
	v_lshrrev_b32_e32 v74, 16, v103
	v_pack_b32_f16 v23, v23, v25
	v_sub_f16_e32 v25, v103, v76
	v_sub_f16_e32 v75, v74, v77
	v_fma_f16 v76, v103, 2.0, -v25
	v_fma_f16 v74, v74, 2.0, -v75
	v_pack_b32_f16 v74, v76, v74
	ds_write2st64_b32 v56, v23, v74 offset0:35 offset1:37
	v_lshrrev_b32_e32 v74, 16, v104
	v_pack_b32_f16 v23, v25, v75
	v_sub_f16_e32 v25, v104, v82
	v_sub_f16_e32 v75, v74, v78
	v_pack_b32_f16 v76, v25, v75
	ds_write2st64_b32 v56, v23, v76 offset0:52 offset1:54
	v_fma_f16 v23, v104, 2.0, -v25
	v_fma_f16 v25, v74, 2.0, -v75
	v_lshrrev_b32_e32 v74, 16, v105
	v_pack_b32_f16 v23, v23, v25
	v_sub_f16_e32 v25, v105, v79
	v_sub_f16_e32 v75, v74, v83
	v_fma_f16 v76, v105, 2.0, -v25
	v_fma_f16 v74, v74, 2.0, -v75
	v_pack_b32_f16 v74, v76, v74
	ds_write2st64_b32 v56, v23, v74 offset0:39 offset1:41
	v_lshrrev_b32_e32 v23, 16, v108
	v_pack_b32_f16 v3, v4, v3
	v_sub_f16_e32 v4, v108, v84
	v_sub_f16_e32 v74, v23, v80
	v_fma_f16 v76, v108, 2.0, -v4
	v_fma_f16 v23, v23, 2.0, -v74
	v_pack_b32_f16 v23, v76, v23
	ds_write2st64_b32 v56, v23, v3 offset0:43 offset1:46
	v_pack_b32_f16 v3, v25, v75
	v_pack_b32_f16 v4, v4, v74
	ds_write2st64_b32 v56, v3, v4 offset0:56 offset1:58
	s_waitcnt lgkmcnt(0)
	s_barrier
	global_load_dword v23, v[9:10], off offset:3544
	v_add_co_u32_e64 v3, s[0:1], s4, v50
	v_addc_co_u32_e64 v4, s[0:1], 0, v51, s[0:1]
	v_add_co_u32_e64 v9, s[0:1], s4, v52
	v_addc_co_u32_e64 v10, s[0:1], 0, v53, s[0:1]
	;; [unrolled: 2-line block ×5, first 2 shown]
	v_add_co_u32_e64 v44, s[0:1], s4, v44
	v_lshlrev_b64 v[36:37], 2, v[36:37]
	ds_read2st64_b32 v[54:55], v56 offset1:30
	v_addc_co_u32_e64 v45, s[0:1], 0, v45, s[0:1]
	v_add_co_u32_e64 v25, s[0:1], s12, v36
	v_addc_co_u32_e64 v53, s[0:1], v73, v37, s[0:1]
	v_add_co_u32_e64 v52, s[0:1], s4, v25
	v_addc_co_u32_e64 v53, s[0:1], 0, v53, s[0:1]
	global_load_dword v74, v[3:4], off offset:3544
	global_load_dword v75, v[9:10], off offset:3544
	;; [unrolled: 1-line block ×7, first 2 shown]
	s_waitcnt lgkmcnt(0)
	v_lshrrev_b32_e32 v3, 16, v55
	v_lshlrev_b64 v[44:45], 2, v[32:33]
	v_lshlrev_b64 v[32:33], 2, v[26:27]
	;; [unrolled: 1-line block ×4, first 2 shown]
	s_waitcnt vmcnt(7)
	v_mul_f16_sdwa v4, v23, v55 dst_sel:DWORD dst_unused:UNUSED_PAD src0_sel:WORD_1 src1_sel:DWORD
	v_fma_f16 v81, v23, v3, v4
	v_mul_f16_sdwa v3, v23, v3 dst_sel:DWORD dst_unused:UNUSED_PAD src0_sel:WORD_1 src1_sel:DWORD
	v_fma_f16 v23, v23, v55, -v3
	v_add_co_u32_e64 v3, s[0:1], s12, v44
	v_addc_co_u32_e64 v4, s[0:1], v73, v45, s[0:1]
	v_add_co_u32_e64 v46, s[0:1], s4, v3
	v_addc_co_u32_e64 v47, s[0:1], 0, v4, s[0:1]
	;; [unrolled: 2-line block ×12, first 2 shown]
	v_lshlrev_b64 v[3:4], 2, v[40:41]
	v_sub_f16_e32 v23, v54, v23
	v_add_co_u32_e64 v29, s[0:1], s12, v3
	v_addc_co_u32_e64 v41, s[0:1], v73, v4, s[0:1]
	v_add_co_u32_e64 v40, s[0:1], s4, v29
	v_addc_co_u32_e64 v41, s[0:1], 0, v41, s[0:1]
	global_load_dword v29, v[46:47], off offset:3544
	global_load_dword v55, v[48:49], off offset:3544
	;; [unrolled: 1-line block ×7, first 2 shown]
	v_lshrrev_b32_e32 v27, 16, v54
	v_sub_f16_e32 v38, v27, v81
	v_fma_f16 v28, v54, 2.0, -v23
	v_fma_f16 v27, v27, 2.0, -v38
	v_pack_b32_f16 v54, v28, v27
	v_pack_b32_f16 v23, v23, v38
	ds_read_b32 v81, v60
	ds_read_b32 v86, v72
	;; [unrolled: 1-line block ×14, first 2 shown]
	ds_read2st64_b32 v[27:28], v56 offset0:32 offset1:34
	ds_read2st64_b32 v[38:39], v56 offset0:36 offset1:38
	;; [unrolled: 1-line block ×7, first 2 shown]
	s_waitcnt vmcnt(0) lgkmcnt(0)
	s_barrier
	ds_write2st64_b32 v56, v54, v23 offset1:30
	v_lshrrev_b32_e32 v23, 16, v27
	v_mul_f16_sdwa v54, v74, v27 dst_sel:DWORD dst_unused:UNUSED_PAD src0_sel:WORD_1 src1_sel:DWORD
	v_fma_f16 v54, v74, v23, v54
	v_mul_f16_sdwa v23, v74, v23 dst_sel:DWORD dst_unused:UNUSED_PAD src0_sel:WORD_1 src1_sel:DWORD
	v_fma_f16 v23, v74, v27, -v23
	v_lshrrev_b32_e32 v27, 16, v97
	v_sub_f16_e32 v23, v97, v23
	v_sub_f16_e32 v54, v27, v54
	v_fma_f16 v74, v97, 2.0, -v23
	v_fma_f16 v27, v27, 2.0, -v54
	v_pack_b32_f16 v27, v74, v27
	v_pack_b32_f16 v23, v23, v54
	ds_write2st64_b32 v65, v27, v23 offset1:30
	v_lshrrev_b32_e32 v23, 16, v28
	v_mul_f16_sdwa v27, v75, v23 dst_sel:DWORD dst_unused:UNUSED_PAD src0_sel:WORD_1 src1_sel:DWORD
	v_fma_f16 v27, v75, v28, -v27
	v_mul_f16_sdwa v28, v75, v28 dst_sel:DWORD dst_unused:UNUSED_PAD src0_sel:WORD_1 src1_sel:DWORD
	v_fma_f16 v23, v75, v23, v28
	v_lshrrev_b32_e32 v28, 16, v96
	v_sub_f16_e32 v27, v96, v27
	v_sub_f16_e32 v23, v28, v23
	v_fma_f16 v54, v96, 2.0, -v27
	v_fma_f16 v28, v28, 2.0, -v23
	v_pack_b32_f16 v28, v54, v28
	v_pack_b32_f16 v23, v27, v23
	ds_write2st64_b32 v64, v28, v23 offset1:30
	v_lshrrev_b32_e32 v23, 16, v38
	v_mul_f16_sdwa v27, v38, v76 dst_sel:DWORD dst_unused:UNUSED_PAD src0_sel:DWORD src1_sel:WORD_1
	v_fma_f16 v27, v23, v76, v27
	v_mul_f16_sdwa v23, v23, v76 dst_sel:DWORD dst_unused:UNUSED_PAD src0_sel:DWORD src1_sel:WORD_1
	v_lshrrev_b32_e32 v28, 16, v39
	v_fma_f16 v23, v38, v76, -v23
	v_mul_f16_sdwa v38, v28, v77 dst_sel:DWORD dst_unused:UNUSED_PAD src0_sel:DWORD src1_sel:WORD_1
	v_fma_f16 v38, v39, v77, -v38
	v_mul_f16_sdwa v39, v39, v77 dst_sel:DWORD dst_unused:UNUSED_PAD src0_sel:DWORD src1_sel:WORD_1
	v_fma_f16 v28, v28, v77, v39
	v_lshrrev_b32_e32 v39, 16, v40
	v_mul_f16_sdwa v54, v40, v78 dst_sel:DWORD dst_unused:UNUSED_PAD src0_sel:DWORD src1_sel:WORD_1
	v_fma_f16 v54, v39, v78, v54
	v_mul_f16_sdwa v39, v39, v78 dst_sel:DWORD dst_unused:UNUSED_PAD src0_sel:DWORD src1_sel:WORD_1
	v_fma_f16 v39, v40, v78, -v39
	v_lshrrev_b32_e32 v40, 16, v41
	v_mul_f16_sdwa v64, v40, v79 dst_sel:DWORD dst_unused:UNUSED_PAD src0_sel:DWORD src1_sel:WORD_1
	v_fma_f16 v64, v41, v79, -v64
	v_mul_f16_sdwa v41, v41, v79 dst_sel:DWORD dst_unused:UNUSED_PAD src0_sel:DWORD src1_sel:WORD_1
	v_fma_f16 v40, v40, v79, v41
	v_lshrrev_b32_e32 v41, 16, v46
	v_mul_f16_sdwa v65, v46, v80 dst_sel:DWORD dst_unused:UNUSED_PAD src0_sel:DWORD src1_sel:WORD_1
	v_fma_f16 v65, v41, v80, v65
	v_mul_f16_sdwa v41, v41, v80 dst_sel:DWORD dst_unused:UNUSED_PAD src0_sel:DWORD src1_sel:WORD_1
	v_fma_f16 v41, v46, v80, -v41
	v_lshrrev_b32_e32 v46, 16, v47
	v_sub_f16_e32 v23, v91, v23
	v_fma_f16 v78, v91, 2.0, -v23
	v_cmp_ne_u32_e64 s[0:1], 0, v0
	v_mul_f16_sdwa v74, v46, v29 dst_sel:DWORD dst_unused:UNUSED_PAD src0_sel:DWORD src1_sel:WORD_1
	v_fma_f16 v74, v47, v29, -v74
	v_mul_f16_sdwa v47, v47, v29 dst_sel:DWORD dst_unused:UNUSED_PAD src0_sel:DWORD src1_sel:WORD_1
	v_fma_f16 v29, v46, v29, v47
	v_lshrrev_b32_e32 v46, 16, v48
	v_mul_f16_sdwa v47, v48, v55 dst_sel:DWORD dst_unused:UNUSED_PAD src0_sel:DWORD src1_sel:WORD_1
	v_fma_f16 v47, v46, v55, v47
	v_mul_f16_sdwa v46, v46, v55 dst_sel:DWORD dst_unused:UNUSED_PAD src0_sel:DWORD src1_sel:WORD_1
	v_fma_f16 v46, v48, v55, -v46
	v_lshrrev_b32_e32 v48, 16, v49
	v_mul_f16_sdwa v55, v48, v73 dst_sel:DWORD dst_unused:UNUSED_PAD src0_sel:DWORD src1_sel:WORD_1
	v_fma_f16 v55, v49, v73, -v55
	v_mul_f16_sdwa v49, v49, v73 dst_sel:DWORD dst_unused:UNUSED_PAD src0_sel:DWORD src1_sel:WORD_1
	v_fma_f16 v48, v48, v73, v49
	v_lshrrev_b32_e32 v49, 16, v50
	v_mul_f16_sdwa v73, v50, v82 dst_sel:DWORD dst_unused:UNUSED_PAD src0_sel:DWORD src1_sel:WORD_1
	v_fma_f16 v73, v49, v82, v73
	v_mul_f16_sdwa v49, v49, v82 dst_sel:DWORD dst_unused:UNUSED_PAD src0_sel:DWORD src1_sel:WORD_1
	v_fma_f16 v49, v50, v82, -v49
	v_lshrrev_b32_e32 v50, 16, v51
	v_mul_f16_sdwa v75, v50, v83 dst_sel:DWORD dst_unused:UNUSED_PAD src0_sel:DWORD src1_sel:WORD_1
	v_fma_f16 v75, v51, v83, -v75
	v_mul_f16_sdwa v51, v51, v83 dst_sel:DWORD dst_unused:UNUSED_PAD src0_sel:DWORD src1_sel:WORD_1
	v_fma_f16 v50, v50, v83, v51
	v_lshrrev_b32_e32 v51, 16, v52
	v_mul_f16_sdwa v76, v52, v84 dst_sel:DWORD dst_unused:UNUSED_PAD src0_sel:DWORD src1_sel:WORD_1
	v_fma_f16 v76, v51, v84, v76
	v_mul_f16_sdwa v51, v51, v84 dst_sel:DWORD dst_unused:UNUSED_PAD src0_sel:DWORD src1_sel:WORD_1
	v_fma_f16 v51, v52, v84, -v51
	v_lshrrev_b32_e32 v52, 16, v53
	v_mul_f16_sdwa v77, v52, v85 dst_sel:DWORD dst_unused:UNUSED_PAD src0_sel:DWORD src1_sel:WORD_1
	v_fma_f16 v77, v53, v85, -v77
	v_mul_f16_sdwa v53, v53, v85 dst_sel:DWORD dst_unused:UNUSED_PAD src0_sel:DWORD src1_sel:WORD_1
	v_fma_f16 v52, v52, v85, v53
	v_lshrrev_b32_e32 v53, 16, v91
	v_sub_f16_e32 v27, v53, v27
	v_fma_f16 v53, v53, 2.0, -v27
	v_pack_b32_f16 v53, v78, v53
	v_pack_b32_f16 v23, v23, v27
	v_lshrrev_b32_e32 v27, 16, v90
	ds_write2st64_b32 v62, v53, v23 offset1:30
	v_sub_f16_e32 v23, v90, v38
	v_sub_f16_e32 v28, v27, v28
	v_fma_f16 v38, v90, 2.0, -v23
	v_fma_f16 v27, v27, 2.0, -v28
	v_pack_b32_f16 v27, v38, v27
	v_pack_b32_f16 v23, v23, v28
	ds_write2st64_b32 v61, v27, v23 offset1:30
	v_lshrrev_b32_e32 v27, 16, v81
	v_sub_f16_e32 v23, v81, v39
	v_sub_f16_e32 v28, v27, v54
	v_fma_f16 v38, v81, 2.0, -v23
	v_fma_f16 v27, v27, 2.0, -v28
	v_pack_b32_f16 v27, v38, v27
	v_pack_b32_f16 v23, v23, v28
	ds_write2st64_b32 v60, v27, v23 offset1:30
	v_lshrrev_b32_e32 v27, 16, v86
	;; [unrolled: 8-line block ×9, first 2 shown]
	v_lshrrev_b32_e32 v27, 16, v98
	v_sub_f16_e32 v28, v95, v51
	v_sub_f16_e32 v29, v23, v76
	v_fma_f16 v38, v95, 2.0, -v28
	v_fma_f16 v23, v23, 2.0, -v29
	v_sub_f16_e32 v39, v98, v77
	v_sub_f16_e32 v40, v27, v52
	v_fma_f16 v41, v98, 2.0, -v39
	v_fma_f16 v27, v27, 2.0, -v40
	v_pack_b32_f16 v23, v38, v23
	v_pack_b32_f16 v28, v28, v29
	ds_write2st64_b32 v66, v23, v28 offset1:30
	v_pack_b32_f16 v23, v41, v27
	v_pack_b32_f16 v27, v39, v40
	ds_write2st64_b32 v17, v23, v27 offset1:30
	s_waitcnt lgkmcnt(0)
	s_barrier
	ds_read_b32 v38, v56
	v_sub_u32_e32 v23, 0, v57
                                        ; implicit-def: $vgpr28
                                        ; implicit-def: $vgpr27
                                        ; implicit-def: $vgpr29
	s_and_saveexec_b64 s[4:5], s[0:1]
	s_xor_b64 s[4:5], exec, s[4:5]
	s_cbranch_execz .LBB0_15
; %bb.14:
	v_mov_b32_e32 v27, s7
	v_add_co_u32_e64 v1, s[0:1], s6, v1
	v_addc_co_u32_e64 v2, s[0:1], v27, v2, s[0:1]
	global_load_dword v1, v[1:2], off
	ds_read_b32 v2, v23 offset:15360
	s_waitcnt lgkmcnt(0)
	v_sub_f16_e32 v29, v38, v2
	v_add_f16_e32 v27, v2, v38
	v_add_f16_sdwa v28, v2, v38 dst_sel:DWORD dst_unused:UNUSED_PAD src0_sel:WORD_1 src1_sel:WORD_1
	v_sub_f16_sdwa v2, v38, v2 dst_sel:DWORD dst_unused:UNUSED_PAD src0_sel:WORD_1 src1_sel:WORD_1
	v_mul_f16_e32 v38, 0.5, v29
	v_mul_f16_e32 v28, 0.5, v28
	;; [unrolled: 1-line block ×3, first 2 shown]
	s_waitcnt vmcnt(0)
	v_lshrrev_b32_e32 v29, 16, v1
	v_mul_f16_e32 v39, v29, v38
	v_fma_f16 v41, v27, 0.5, v39
	v_fma_f16 v40, v28, v29, v2
	v_fma_f16 v2, v28, v29, -v2
	v_fma_f16 v27, v27, 0.5, -v39
	v_fma_f16 v39, v1, v28, v41
	v_fma_f16 v29, -v1, v38, v40
	v_fma_f16 v27, -v1, v28, v27
	ds_write_b16 v56, v39
	v_fma_f16 v28, -v1, v38, v2
                                        ; implicit-def: $vgpr38
.LBB0_15:
	s_or_saveexec_b64 s[0:1], s[4:5]
	v_mul_i32_i24_e32 v1, 0xffffffdc, v24
	v_mul_i32_i24_e32 v2, 0xffffffdc, v22
	s_xor_b64 exec, exec, s[0:1]
	s_cbranch_execz .LBB0_17
; %bb.16:
	v_mov_b32_e32 v29, 0
	ds_read_u16 v22, v29 offset:7682
	s_waitcnt lgkmcnt(1)
	v_add_f16_sdwa v24, v38, v38 dst_sel:DWORD dst_unused:UNUSED_PAD src0_sel:WORD_1 src1_sel:DWORD
	v_sub_f16_sdwa v27, v38, v38 dst_sel:DWORD dst_unused:UNUSED_PAD src0_sel:DWORD src1_sel:WORD_1
	v_mov_b32_e32 v28, 0
	ds_write_b16 v56, v24
	s_waitcnt lgkmcnt(1)
	v_xor_b32_e32 v22, 0x8000, v22
	ds_write_b16 v29, v22 offset:7682
.LBB0_17:
	s_or_b64 exec, exec, s[0:1]
	v_mov_b32_e32 v22, s7
	v_add_co_u32_e64 v5, s[0:1], s6, v5
	v_addc_co_u32_e64 v6, s[0:1], v22, v6, s[0:1]
	global_load_dword v22, v[5:6], off
	v_mov_b32_e32 v6, s7
	v_add_co_u32_e64 v5, s[0:1], s6, v7
	v_addc_co_u32_e64 v6, s[0:1], v6, v8, s[0:1]
	global_load_dword v24, v[5:6], off
	s_mov_b32 s0, 0x5040100
	ds_write_b16 v56, v29 offset:2
	v_add_u32_e32 v29, v59, v1
	s_waitcnt lgkmcnt(1)
	v_add_u32_e32 v38, v63, v2
	v_mov_b32_e32 v2, s7
	v_perm_b32 v27, v28, v27, s0
	v_add_co_u32_e64 v1, s[0:1], s6, v11
	v_addc_co_u32_e64 v2, s[0:1], v2, v12, s[0:1]
	v_add_co_u32_e64 v5, s[0:1], s6, v13
	global_load_dword v13, v[1:2], off
	v_mov_b32_e32 v6, s7
	v_addc_co_u32_e64 v6, s[0:1], v6, v14, s[0:1]
	v_add_co_u32_e64 v1, s[0:1], s6, v15
	global_load_dword v15, v[5:6], off
	ds_write_b32 v23, v27 offset:15360
	ds_read_b32 v28, v23 offset:14848
	ds_read_b32 v14, v29
	s_mov_b32 s4, 0xffff
	v_mov_b32_e32 v7, s7
	v_addc_co_u32_e64 v2, s[0:1], v7, v16, s[0:1]
	s_waitcnt lgkmcnt(0)
	v_pk_add_f16 v5, v14, v28 neg_lo:[0,1] neg_hi:[0,1]
	v_pk_add_f16 v6, v14, v28
	v_bfi_b32 v14, s4, v5, v6
	v_bfi_b32 v5, s4, v6, v5
	v_pk_mul_f16 v6, v14, 0.5 op_sel_hi:[1,0]
	v_pk_mul_f16 v5, v5, 0.5 op_sel_hi:[1,0]
	v_mov_b32_e32 v8, s7
	v_add_co_u32_e64 v7, s[0:1], s6, v42
	v_addc_co_u32_e64 v8, s[0:1], v8, v43, s[0:1]
	v_mov_b32_e32 v39, s7
	v_add_co_u32_e64 v11, s[0:1], s6, v36
	v_addc_co_u32_e64 v12, s[0:1], v39, v37, s[0:1]
	v_mov_b32_e32 v40, s7
	v_mov_b32_e32 v41, s7
	s_waitcnt vmcnt(3)
	v_pk_fma_f16 v14, v22, v6, v5 op_sel:[1,0,0]
	v_pk_mul_f16 v16, v22, v6 op_sel_hi:[0,1]
	v_pk_fma_f16 v27, v22, v6, v5 op_sel:[1,0,0] neg_lo:[1,0,0] neg_hi:[1,0,0]
	v_pk_fma_f16 v5, v22, v6, v5 op_sel:[1,0,0] neg_lo:[0,0,1] neg_hi:[0,0,1]
	v_pk_add_f16 v6, v14, v16 op_sel:[0,1] op_sel_hi:[1,0]
	v_pk_add_f16 v14, v14, v16 op_sel:[0,1] op_sel_hi:[1,0] neg_lo:[0,1] neg_hi:[0,1]
	v_pk_add_f16 v22, v27, v16 op_sel:[0,1] op_sel_hi:[1,0] neg_lo:[0,1] neg_hi:[0,1]
	;; [unrolled: 1-line block ×3, first 2 shown]
	v_bfi_b32 v6, s4, v6, v14
	v_bfi_b32 v5, s4, v22, v5
	ds_write_b32 v29, v6
	ds_write_b32 v23, v5 offset:14848
	ds_read_b32 v14, v38
	ds_read_b32 v16, v23 offset:14336
	global_load_dword v22, v[1:2], off
	v_add_co_u32_e64 v5, s[0:1], s6, v44
	v_addc_co_u32_e64 v6, s[0:1], v40, v45, s[0:1]
	s_waitcnt lgkmcnt(0)
	v_pk_add_f16 v1, v14, v16 neg_lo:[0,1] neg_hi:[0,1]
	v_pk_add_f16 v2, v14, v16
	v_bfi_b32 v14, s4, v1, v2
	v_bfi_b32 v1, s4, v2, v1
	v_pk_mul_f16 v2, v14, 0.5 op_sel_hi:[1,0]
	v_pk_mul_f16 v1, v1, 0.5 op_sel_hi:[1,0]
	s_waitcnt vmcnt(3)
	v_pk_fma_f16 v14, v24, v2, v1 op_sel:[1,0,0]
	v_pk_mul_f16 v16, v24, v2 op_sel_hi:[0,1]
	v_pk_fma_f16 v27, v24, v2, v1 op_sel:[1,0,0] neg_lo:[1,0,0] neg_hi:[1,0,0]
	v_pk_fma_f16 v1, v24, v2, v1 op_sel:[1,0,0] neg_lo:[0,0,1] neg_hi:[0,0,1]
	v_pk_add_f16 v2, v14, v16 op_sel:[0,1] op_sel_hi:[1,0]
	v_pk_add_f16 v14, v14, v16 op_sel:[0,1] op_sel_hi:[1,0] neg_lo:[0,1] neg_hi:[0,1]
	v_pk_add_f16 v24, v27, v16 op_sel:[0,1] op_sel_hi:[1,0] neg_lo:[0,1] neg_hi:[0,1]
	;; [unrolled: 1-line block ×3, first 2 shown]
	v_bfi_b32 v2, s4, v2, v14
	v_bfi_b32 v1, s4, v24, v1
	ds_write_b32 v38, v2
	ds_write_b32 v23, v1 offset:14336
	ds_read_b32 v14, v62
	ds_read_b32 v16, v23 offset:13824
	global_load_dword v24, v[7:8], off
	v_add_co_u32_e64 v1, s[0:1], s6, v34
	v_addc_co_u32_e64 v2, s[0:1], v41, v35, s[0:1]
	s_waitcnt lgkmcnt(0)
	v_pk_add_f16 v7, v14, v16 neg_lo:[0,1] neg_hi:[0,1]
	v_pk_add_f16 v8, v14, v16
	v_bfi_b32 v14, s4, v7, v8
	v_bfi_b32 v7, s4, v8, v7
	v_pk_mul_f16 v16, v7, 0.5 op_sel_hi:[1,0]
	v_mov_b32_e32 v8, s7
	v_add_co_u32_e64 v7, s[0:1], s6, v32
	v_addc_co_u32_e64 v8, s[0:1], v8, v33, s[0:1]
	global_load_dword v27, v[11:12], off
	global_load_dword v28, v[5:6], off
	;; [unrolled: 1-line block ×4, first 2 shown]
	v_pk_mul_f16 v14, v14, 0.5 op_sel_hi:[1,0]
	s_waitcnt vmcnt(7)
	v_pk_fma_f16 v1, v13, v14, v16 op_sel:[1,0,0]
	v_pk_mul_f16 v2, v13, v14 op_sel_hi:[0,1]
	v_pk_add_f16 v5, v1, v2 op_sel:[0,1] op_sel_hi:[1,0]
	v_pk_add_f16 v1, v1, v2 op_sel:[0,1] op_sel_hi:[1,0] neg_lo:[0,1] neg_hi:[0,1]
	v_bfi_b32 v1, s4, v5, v1
	ds_write_b32 v62, v1
	v_pk_fma_f16 v1, v13, v14, v16 op_sel:[1,0,0] neg_lo:[1,0,0] neg_hi:[1,0,0]
	v_pk_fma_f16 v5, v13, v14, v16 op_sel:[1,0,0] neg_lo:[0,0,1] neg_hi:[0,0,1]
	v_pk_add_f16 v1, v1, v2 op_sel:[0,1] op_sel_hi:[1,0] neg_lo:[0,1] neg_hi:[0,1]
	v_pk_add_f16 v2, v5, v2 op_sel:[0,1] op_sel_hi:[1,0] neg_lo:[0,1] neg_hi:[0,1]
	v_bfi_b32 v1, s4, v1, v2
	ds_write_b32 v23, v1 offset:13824
	ds_read_b32 v1, v61
	ds_read_b32 v2, v23 offset:13312
	s_waitcnt lgkmcnt(0)
	v_pk_add_f16 v5, v1, v2 neg_lo:[0,1] neg_hi:[0,1]
	v_pk_add_f16 v1, v1, v2
	v_bfi_b32 v2, s4, v5, v1
	v_bfi_b32 v1, s4, v1, v5
	v_pk_mul_f16 v2, v2, 0.5 op_sel_hi:[1,0]
	v_pk_mul_f16 v1, v1, 0.5 op_sel_hi:[1,0]
	s_waitcnt vmcnt(6)
	v_pk_fma_f16 v5, v15, v2, v1 op_sel:[1,0,0]
	v_pk_mul_f16 v6, v15, v2 op_sel_hi:[0,1]
	v_pk_add_f16 v7, v5, v6 op_sel:[0,1] op_sel_hi:[1,0]
	v_pk_add_f16 v5, v5, v6 op_sel:[0,1] op_sel_hi:[1,0] neg_lo:[0,1] neg_hi:[0,1]
	v_bfi_b32 v5, s4, v7, v5
	ds_write_b32 v61, v5
	v_pk_fma_f16 v5, v15, v2, v1 op_sel:[1,0,0] neg_lo:[1,0,0] neg_hi:[1,0,0]
	v_pk_fma_f16 v1, v15, v2, v1 op_sel:[1,0,0] neg_lo:[0,0,1] neg_hi:[0,0,1]
	v_pk_add_f16 v5, v5, v6 op_sel:[0,1] op_sel_hi:[1,0] neg_lo:[0,1] neg_hi:[0,1]
	v_pk_add_f16 v1, v1, v6 op_sel:[0,1] op_sel_hi:[1,0] neg_lo:[0,1] neg_hi:[0,1]
	v_bfi_b32 v1, s4, v5, v1
	ds_write_b32 v23, v1 offset:13312
	ds_read_b32 v1, v60
	ds_read_b32 v2, v23 offset:12800
	s_waitcnt lgkmcnt(0)
	v_pk_add_f16 v5, v1, v2 neg_lo:[0,1] neg_hi:[0,1]
	v_pk_add_f16 v1, v1, v2
	v_bfi_b32 v2, s4, v5, v1
	v_bfi_b32 v1, s4, v1, v5
	v_pk_mul_f16 v2, v2, 0.5 op_sel_hi:[1,0]
	;; [unrolled: 22-line block ×5, first 2 shown]
	v_pk_mul_f16 v6, v1, 0.5 op_sel_hi:[1,0]
	s_waitcnt vmcnt(2)
	v_pk_fma_f16 v1, v28, v5, v6 op_sel:[1,0,0]
	v_pk_mul_f16 v7, v28, v5 op_sel_hi:[0,1]
	v_pk_add_f16 v2, v1, v7 op_sel:[0,1] op_sel_hi:[1,0]
	v_pk_add_f16 v1, v1, v7 op_sel:[0,1] op_sel_hi:[1,0] neg_lo:[0,1] neg_hi:[0,1]
	v_bfi_b32 v1, s4, v2, v1
	ds_write_b32 v70, v1
	v_pk_fma_f16 v1, v28, v5, v6 op_sel:[1,0,0] neg_lo:[1,0,0] neg_hi:[1,0,0]
	v_pk_add_f16 v8, v1, v7 op_sel:[0,1] op_sel_hi:[1,0] neg_lo:[0,1] neg_hi:[0,1]
	v_mov_b32_e32 v2, s7
	v_add_co_u32_e64 v1, s[0:1], s6, v30
	v_addc_co_u32_e64 v2, s[0:1], v2, v31, s[0:1]
	global_load_dword v11, v[1:2], off
	v_pk_fma_f16 v1, v28, v5, v6 op_sel:[1,0,0] neg_lo:[0,0,1] neg_hi:[0,0,1]
	v_pk_add_f16 v1, v1, v7 op_sel:[0,1] op_sel_hi:[1,0] neg_lo:[0,1] neg_hi:[0,1]
	v_bfi_b32 v1, s4, v8, v1
	ds_write_b32 v23, v1 offset:11264
	ds_read_b32 v1, v69
	ds_read_b32 v2, v23 offset:10752
	s_waitcnt lgkmcnt(0)
	v_pk_add_f16 v5, v1, v2 neg_lo:[0,1] neg_hi:[0,1]
	v_pk_add_f16 v1, v1, v2
	v_bfi_b32 v2, s4, v5, v1
	v_bfi_b32 v1, s4, v1, v5
	v_pk_mul_f16 v5, v2, 0.5 op_sel_hi:[1,0]
	v_pk_mul_f16 v6, v1, 0.5 op_sel_hi:[1,0]
	v_mov_b32_e32 v2, s7
	v_add_co_u32_e64 v1, s[0:1], s6, v25
	v_addc_co_u32_e64 v2, s[0:1], v2, v26, s[0:1]
	global_load_dword v12, v[1:2], off
	s_waitcnt vmcnt(3)
	v_pk_fma_f16 v7, v29, v5, v6 op_sel:[1,0,0]
	v_pk_mul_f16 v8, v29, v5 op_sel_hi:[0,1]
	v_pk_add_f16 v1, v7, v8 op_sel:[0,1] op_sel_hi:[1,0]
	v_pk_add_f16 v2, v7, v8 op_sel:[0,1] op_sel_hi:[1,0] neg_lo:[0,1] neg_hi:[0,1]
	v_bfi_b32 v1, s4, v1, v2
	ds_write_b32 v69, v1
	v_pk_fma_f16 v1, v29, v5, v6 op_sel:[1,0,0] neg_lo:[1,0,0] neg_hi:[1,0,0]
	v_pk_fma_f16 v2, v29, v5, v6 op_sel:[1,0,0] neg_lo:[0,0,1] neg_hi:[0,0,1]
	v_pk_add_f16 v1, v1, v8 op_sel:[0,1] op_sel_hi:[1,0] neg_lo:[0,1] neg_hi:[0,1]
	v_pk_add_f16 v2, v2, v8 op_sel:[0,1] op_sel_hi:[1,0] neg_lo:[0,1] neg_hi:[0,1]
	v_bfi_b32 v1, s4, v1, v2
	ds_write_b32 v23, v1 offset:10752
	ds_read_b32 v1, v58
	ds_read_b32 v2, v23 offset:10240
	s_waitcnt lgkmcnt(0)
	v_pk_add_f16 v5, v1, v2 neg_lo:[0,1] neg_hi:[0,1]
	v_pk_add_f16 v6, v1, v2
	v_mov_b32_e32 v2, s7
	v_add_co_u32_e64 v1, s[0:1], s6, v9
	v_addc_co_u32_e64 v2, s[0:1], v2, v10, s[0:1]
	global_load_dword v7, v[1:2], off
	v_bfi_b32 v1, s4, v5, v6
	v_bfi_b32 v2, s4, v6, v5
	v_pk_mul_f16 v1, v1, 0.5 op_sel_hi:[1,0]
	v_pk_mul_f16 v2, v2, 0.5 op_sel_hi:[1,0]
	s_waitcnt vmcnt(3)
	v_pk_fma_f16 v5, v32, v1, v2 op_sel:[1,0,0]
	v_pk_mul_f16 v6, v32, v1 op_sel_hi:[0,1]
	v_pk_add_f16 v8, v5, v6 op_sel:[0,1] op_sel_hi:[1,0]
	v_pk_add_f16 v5, v5, v6 op_sel:[0,1] op_sel_hi:[1,0] neg_lo:[0,1] neg_hi:[0,1]
	v_bfi_b32 v5, s4, v8, v5
	ds_write_b32 v58, v5
	v_pk_fma_f16 v5, v32, v1, v2 op_sel:[1,0,0] neg_lo:[1,0,0] neg_hi:[1,0,0]
	v_pk_fma_f16 v1, v32, v1, v2 op_sel:[1,0,0] neg_lo:[0,0,1] neg_hi:[0,0,1]
	v_pk_add_f16 v5, v5, v6 op_sel:[0,1] op_sel_hi:[1,0] neg_lo:[0,1] neg_hi:[0,1]
	v_pk_add_f16 v1, v1, v6 op_sel:[0,1] op_sel_hi:[1,0] neg_lo:[0,1] neg_hi:[0,1]
	v_bfi_b32 v1, s4, v5, v1
	ds_write_b32 v23, v1 offset:10240
	v_mov_b32_e32 v2, s7
	v_add_co_u32_e64 v1, s[0:1], s6, v3
	v_addc_co_u32_e64 v2, s[0:1], v2, v4, s[0:1]
	ds_read_b32 v5, v68
	ds_read_b32 v6, v23 offset:9728
	global_load_dword v1, v[1:2], off
	s_waitcnt lgkmcnt(0)
	v_pk_add_f16 v2, v5, v6 neg_lo:[0,1] neg_hi:[0,1]
	v_pk_add_f16 v3, v5, v6
	v_bfi_b32 v4, s4, v2, v3
	v_bfi_b32 v2, s4, v3, v2
	v_pk_mul_f16 v3, v4, 0.5 op_sel_hi:[1,0]
	v_pk_mul_f16 v2, v2, 0.5 op_sel_hi:[1,0]
	s_waitcnt vmcnt(3)
	v_pk_fma_f16 v4, v11, v3, v2 op_sel:[1,0,0]
	v_pk_mul_f16 v5, v11, v3 op_sel_hi:[0,1]
	v_pk_add_f16 v6, v4, v5 op_sel:[0,1] op_sel_hi:[1,0]
	v_pk_add_f16 v4, v4, v5 op_sel:[0,1] op_sel_hi:[1,0] neg_lo:[0,1] neg_hi:[0,1]
	v_bfi_b32 v4, s4, v6, v4
	ds_write_b32 v68, v4
	v_pk_fma_f16 v4, v11, v3, v2 op_sel:[1,0,0] neg_lo:[1,0,0] neg_hi:[1,0,0]
	v_pk_fma_f16 v2, v11, v3, v2 op_sel:[1,0,0] neg_lo:[0,0,1] neg_hi:[0,0,1]
	v_pk_add_f16 v4, v4, v5 op_sel:[0,1] op_sel_hi:[1,0] neg_lo:[0,1] neg_hi:[0,1]
	v_pk_add_f16 v2, v2, v5 op_sel:[0,1] op_sel_hi:[1,0] neg_lo:[0,1] neg_hi:[0,1]
	v_bfi_b32 v2, s4, v4, v2
	ds_write_b32 v23, v2 offset:9728
	ds_read_b32 v2, v67
	ds_read_b32 v3, v23 offset:9216
	s_waitcnt lgkmcnt(0)
	v_pk_add_f16 v4, v2, v3 neg_lo:[0,1] neg_hi:[0,1]
	v_pk_add_f16 v2, v2, v3
	v_bfi_b32 v3, s4, v4, v2
	v_bfi_b32 v2, s4, v2, v4
	v_pk_mul_f16 v3, v3, 0.5 op_sel_hi:[1,0]
	v_pk_mul_f16 v2, v2, 0.5 op_sel_hi:[1,0]
	s_waitcnt vmcnt(2)
	v_pk_fma_f16 v4, v12, v3, v2 op_sel:[1,0,0]
	v_pk_mul_f16 v5, v12, v3 op_sel_hi:[0,1]
	v_pk_add_f16 v6, v4, v5 op_sel:[0,1] op_sel_hi:[1,0]
	v_pk_add_f16 v4, v4, v5 op_sel:[0,1] op_sel_hi:[1,0] neg_lo:[0,1] neg_hi:[0,1]
	v_bfi_b32 v4, s4, v6, v4
	ds_write_b32 v67, v4
	v_pk_fma_f16 v4, v12, v3, v2 op_sel:[1,0,0] neg_lo:[1,0,0] neg_hi:[1,0,0]
	v_pk_fma_f16 v2, v12, v3, v2 op_sel:[1,0,0] neg_lo:[0,0,1] neg_hi:[0,0,1]
	v_pk_add_f16 v4, v4, v5 op_sel:[0,1] op_sel_hi:[1,0] neg_lo:[0,1] neg_hi:[0,1]
	v_pk_add_f16 v2, v2, v5 op_sel:[0,1] op_sel_hi:[1,0] neg_lo:[0,1] neg_hi:[0,1]
	v_bfi_b32 v2, s4, v4, v2
	ds_write_b32 v23, v2 offset:9216
	ds_read_b32 v2, v66
	ds_read_b32 v3, v23 offset:8704
	;; [unrolled: 22-line block ×3, first 2 shown]
	s_waitcnt lgkmcnt(0)
	v_pk_add_f16 v4, v2, v3 neg_lo:[0,1] neg_hi:[0,1]
	v_pk_add_f16 v2, v2, v3
	v_bfi_b32 v3, s4, v4, v2
	v_bfi_b32 v2, s4, v2, v4
	v_pk_mul_f16 v3, v3, 0.5 op_sel_hi:[1,0]
	v_pk_mul_f16 v2, v2, 0.5 op_sel_hi:[1,0]
	s_waitcnt vmcnt(0)
	v_pk_fma_f16 v4, v1, v3, v2 op_sel:[1,0,0]
	v_pk_mul_f16 v5, v1, v3 op_sel_hi:[0,1]
	v_pk_add_f16 v6, v4, v5 op_sel:[0,1] op_sel_hi:[1,0]
	v_pk_add_f16 v4, v4, v5 op_sel:[0,1] op_sel_hi:[1,0] neg_lo:[0,1] neg_hi:[0,1]
	v_bfi_b32 v4, s4, v6, v4
	ds_write_b32 v17, v4
	v_pk_fma_f16 v4, v1, v3, v2 op_sel:[1,0,0] neg_lo:[1,0,0] neg_hi:[1,0,0]
	v_pk_fma_f16 v1, v1, v3, v2 op_sel:[1,0,0] neg_lo:[0,0,1] neg_hi:[0,0,1]
	v_pk_add_f16 v4, v4, v5 op_sel:[0,1] op_sel_hi:[1,0] neg_lo:[0,1] neg_hi:[0,1]
	v_pk_add_f16 v1, v1, v5 op_sel:[0,1] op_sel_hi:[1,0] neg_lo:[0,1] neg_hi:[0,1]
	v_bfi_b32 v1, s4, v4, v1
	ds_write_b32 v23, v1 offset:8192
	s_waitcnt lgkmcnt(0)
	s_barrier
	s_and_saveexec_b64 s[0:1], vcc
	s_cbranch_execz .LBB0_20
; %bb.18:
	v_mul_lo_u32 v1, s3, v20
	v_mul_lo_u32 v4, s2, v21
	v_mad_u64_u32 v[2:3], s[0:1], s2, v20, 0
	v_mov_b32_e32 v6, s11
	v_lshl_add_u32 v8, v0, 2, 0
	v_add3_u32 v3, v3, v4, v1
	v_lshlrev_b64 v[2:3], 2, v[2:3]
	v_mov_b32_e32 v1, 0
	v_add_co_u32_e32 v2, vcc, s10, v2
	v_addc_co_u32_e32 v9, vcc, v6, v3, vcc
	v_lshlrev_b64 v[6:7], 2, v[18:19]
	ds_read2st64_b32 v[4:5], v8 offset1:2
	v_add_co_u32_e32 v3, vcc, v2, v6
	v_addc_co_u32_e32 v2, vcc, v9, v7, vcc
	v_lshlrev_b64 v[6:7], 2, v[0:1]
	s_movk_i32 s0, 0x7f
	v_add_co_u32_e32 v6, vcc, v3, v6
	v_addc_co_u32_e32 v7, vcc, v2, v7, vcc
	s_waitcnt lgkmcnt(0)
	global_store_dword v[6:7], v4, off
	v_add_u32_e32 v6, 0x80, v0
	v_mov_b32_e32 v7, v1
	v_lshlrev_b64 v[6:7], 2, v[6:7]
	v_add_u32_e32 v4, 0x100, v0
	v_add_co_u32_e32 v6, vcc, v3, v6
	v_addc_co_u32_e32 v7, vcc, v2, v7, vcc
	global_store_dword v[6:7], v5, off
	v_mov_b32_e32 v5, v1
	ds_read2st64_b32 v[6:7], v8 offset0:4 offset1:6
	v_lshlrev_b64 v[4:5], 2, v[4:5]
	v_add_co_u32_e32 v4, vcc, v3, v4
	v_addc_co_u32_e32 v5, vcc, v2, v5, vcc
	s_waitcnt lgkmcnt(0)
	global_store_dword v[4:5], v6, off
	v_add_u32_e32 v4, 0x180, v0
	v_mov_b32_e32 v5, v1
	v_lshlrev_b64 v[4:5], 2, v[4:5]
	v_add_co_u32_e32 v4, vcc, v3, v4
	v_addc_co_u32_e32 v5, vcc, v2, v5, vcc
	global_store_dword v[4:5], v7, off
	v_add_u32_e32 v4, 0x200, v0
	v_mov_b32_e32 v5, v1
	ds_read2st64_b32 v[6:7], v8 offset0:8 offset1:10
	v_lshlrev_b64 v[4:5], 2, v[4:5]
	v_add_co_u32_e32 v4, vcc, v3, v4
	v_addc_co_u32_e32 v5, vcc, v2, v5, vcc
	s_waitcnt lgkmcnt(0)
	global_store_dword v[4:5], v6, off
	v_add_u32_e32 v4, 0x280, v0
	v_mov_b32_e32 v5, v1
	v_lshlrev_b64 v[4:5], 2, v[4:5]
	v_add_co_u32_e32 v4, vcc, v3, v4
	v_addc_co_u32_e32 v5, vcc, v2, v5, vcc
	global_store_dword v[4:5], v7, off
	v_add_u32_e32 v4, 0x300, v0
	;; [unrolled: 14-line block ×13, first 2 shown]
	v_mov_b32_e32 v5, v1
	ds_read2st64_b32 v[6:7], v8 offset0:56 offset1:58
	v_lshlrev_b64 v[4:5], 2, v[4:5]
	v_add_co_u32_e32 v4, vcc, v3, v4
	v_addc_co_u32_e32 v5, vcc, v2, v5, vcc
	s_waitcnt lgkmcnt(0)
	global_store_dword v[4:5], v6, off
	v_add_u32_e32 v4, 0xe80, v0
	v_mov_b32_e32 v5, v1
	v_lshlrev_b64 v[4:5], 2, v[4:5]
	v_add_co_u32_e32 v4, vcc, v3, v4
	v_addc_co_u32_e32 v5, vcc, v2, v5, vcc
	v_cmp_eq_u32_e32 vcc, s0, v0
	global_store_dword v[4:5], v7, off
	s_and_b64 exec, exec, vcc
	s_cbranch_execz .LBB0_20
; %bb.19:
	ds_read_b32 v4, v1 offset:15360
	v_add_co_u32_e32 v0, vcc, 0x3000, v3
	v_addc_co_u32_e32 v1, vcc, 0, v2, vcc
	s_waitcnt lgkmcnt(0)
	global_store_dword v[0:1], v4, off offset:3072
.LBB0_20:
	s_endpgm
	.section	.rodata,"a",@progbits
	.p2align	6, 0x0
	.amdhsa_kernel fft_rtc_fwd_len3840_factors_10_6_2_2_2_2_2_2_wgs_128_tpt_128_halfLds_half_op_CI_CI_unitstride_sbrr_R2C_dirReg
		.amdhsa_group_segment_fixed_size 0
		.amdhsa_private_segment_fixed_size 0
		.amdhsa_kernarg_size 104
		.amdhsa_user_sgpr_count 6
		.amdhsa_user_sgpr_private_segment_buffer 1
		.amdhsa_user_sgpr_dispatch_ptr 0
		.amdhsa_user_sgpr_queue_ptr 0
		.amdhsa_user_sgpr_kernarg_segment_ptr 1
		.amdhsa_user_sgpr_dispatch_id 0
		.amdhsa_user_sgpr_flat_scratch_init 0
		.amdhsa_user_sgpr_private_segment_size 0
		.amdhsa_uses_dynamic_stack 0
		.amdhsa_system_sgpr_private_segment_wavefront_offset 0
		.amdhsa_system_sgpr_workgroup_id_x 1
		.amdhsa_system_sgpr_workgroup_id_y 0
		.amdhsa_system_sgpr_workgroup_id_z 0
		.amdhsa_system_sgpr_workgroup_info 0
		.amdhsa_system_vgpr_workitem_id 0
		.amdhsa_next_free_vgpr 140
		.amdhsa_next_free_sgpr 28
		.amdhsa_reserve_vcc 1
		.amdhsa_reserve_flat_scratch 0
		.amdhsa_float_round_mode_32 0
		.amdhsa_float_round_mode_16_64 0
		.amdhsa_float_denorm_mode_32 3
		.amdhsa_float_denorm_mode_16_64 3
		.amdhsa_dx10_clamp 1
		.amdhsa_ieee_mode 1
		.amdhsa_fp16_overflow 0
		.amdhsa_exception_fp_ieee_invalid_op 0
		.amdhsa_exception_fp_denorm_src 0
		.amdhsa_exception_fp_ieee_div_zero 0
		.amdhsa_exception_fp_ieee_overflow 0
		.amdhsa_exception_fp_ieee_underflow 0
		.amdhsa_exception_fp_ieee_inexact 0
		.amdhsa_exception_int_div_zero 0
	.end_amdhsa_kernel
	.text
.Lfunc_end0:
	.size	fft_rtc_fwd_len3840_factors_10_6_2_2_2_2_2_2_wgs_128_tpt_128_halfLds_half_op_CI_CI_unitstride_sbrr_R2C_dirReg, .Lfunc_end0-fft_rtc_fwd_len3840_factors_10_6_2_2_2_2_2_2_wgs_128_tpt_128_halfLds_half_op_CI_CI_unitstride_sbrr_R2C_dirReg
                                        ; -- End function
	.section	.AMDGPU.csdata,"",@progbits
; Kernel info:
; codeLenInByte = 25660
; NumSgprs: 32
; NumVgprs: 140
; ScratchSize: 0
; MemoryBound: 0
; FloatMode: 240
; IeeeMode: 1
; LDSByteSize: 0 bytes/workgroup (compile time only)
; SGPRBlocks: 3
; VGPRBlocks: 34
; NumSGPRsForWavesPerEU: 32
; NumVGPRsForWavesPerEU: 140
; Occupancy: 1
; WaveLimiterHint : 1
; COMPUTE_PGM_RSRC2:SCRATCH_EN: 0
; COMPUTE_PGM_RSRC2:USER_SGPR: 6
; COMPUTE_PGM_RSRC2:TRAP_HANDLER: 0
; COMPUTE_PGM_RSRC2:TGID_X_EN: 1
; COMPUTE_PGM_RSRC2:TGID_Y_EN: 0
; COMPUTE_PGM_RSRC2:TGID_Z_EN: 0
; COMPUTE_PGM_RSRC2:TIDIG_COMP_CNT: 0
	.type	__hip_cuid_8f957085fe48ccbb,@object ; @__hip_cuid_8f957085fe48ccbb
	.section	.bss,"aw",@nobits
	.globl	__hip_cuid_8f957085fe48ccbb
__hip_cuid_8f957085fe48ccbb:
	.byte	0                               ; 0x0
	.size	__hip_cuid_8f957085fe48ccbb, 1

	.ident	"AMD clang version 19.0.0git (https://github.com/RadeonOpenCompute/llvm-project roc-6.4.0 25133 c7fe45cf4b819c5991fe208aaa96edf142730f1d)"
	.section	".note.GNU-stack","",@progbits
	.addrsig
	.addrsig_sym __hip_cuid_8f957085fe48ccbb
	.amdgpu_metadata
---
amdhsa.kernels:
  - .args:
      - .actual_access:  read_only
        .address_space:  global
        .offset:         0
        .size:           8
        .value_kind:     global_buffer
      - .offset:         8
        .size:           8
        .value_kind:     by_value
      - .actual_access:  read_only
        .address_space:  global
        .offset:         16
        .size:           8
        .value_kind:     global_buffer
      - .actual_access:  read_only
        .address_space:  global
        .offset:         24
        .size:           8
        .value_kind:     global_buffer
      - .actual_access:  read_only
        .address_space:  global
        .offset:         32
        .size:           8
        .value_kind:     global_buffer
      - .offset:         40
        .size:           8
        .value_kind:     by_value
      - .actual_access:  read_only
        .address_space:  global
        .offset:         48
        .size:           8
        .value_kind:     global_buffer
      - .actual_access:  read_only
        .address_space:  global
        .offset:         56
        .size:           8
        .value_kind:     global_buffer
      - .offset:         64
        .size:           4
        .value_kind:     by_value
      - .actual_access:  read_only
        .address_space:  global
        .offset:         72
        .size:           8
        .value_kind:     global_buffer
      - .actual_access:  read_only
        .address_space:  global
        .offset:         80
        .size:           8
        .value_kind:     global_buffer
      - .actual_access:  read_only
        .address_space:  global
        .offset:         88
        .size:           8
        .value_kind:     global_buffer
      - .actual_access:  write_only
        .address_space:  global
        .offset:         96
        .size:           8
        .value_kind:     global_buffer
    .group_segment_fixed_size: 0
    .kernarg_segment_align: 8
    .kernarg_segment_size: 104
    .language:       OpenCL C
    .language_version:
      - 2
      - 0
    .max_flat_workgroup_size: 128
    .name:           fft_rtc_fwd_len3840_factors_10_6_2_2_2_2_2_2_wgs_128_tpt_128_halfLds_half_op_CI_CI_unitstride_sbrr_R2C_dirReg
    .private_segment_fixed_size: 0
    .sgpr_count:     32
    .sgpr_spill_count: 0
    .symbol:         fft_rtc_fwd_len3840_factors_10_6_2_2_2_2_2_2_wgs_128_tpt_128_halfLds_half_op_CI_CI_unitstride_sbrr_R2C_dirReg.kd
    .uniform_work_group_size: 1
    .uses_dynamic_stack: false
    .vgpr_count:     140
    .vgpr_spill_count: 0
    .wavefront_size: 64
amdhsa.target:   amdgcn-amd-amdhsa--gfx906
amdhsa.version:
  - 1
  - 2
...

	.end_amdgpu_metadata
